;; amdgpu-corpus repo=ROCm/rocFFT kind=compiled arch=gfx1030 opt=O3
	.text
	.amdgcn_target "amdgcn-amd-amdhsa--gfx1030"
	.amdhsa_code_object_version 6
	.protected	bluestein_single_back_len495_dim1_dp_op_CI_CI ; -- Begin function bluestein_single_back_len495_dim1_dp_op_CI_CI
	.globl	bluestein_single_back_len495_dim1_dp_op_CI_CI
	.p2align	8
	.type	bluestein_single_back_len495_dim1_dp_op_CI_CI,@function
bluestein_single_back_len495_dim1_dp_op_CI_CI: ; @bluestein_single_back_len495_dim1_dp_op_CI_CI
; %bb.0:
	s_load_dwordx4 s[0:3], s[4:5], 0x28
	v_mul_u32_u24_e32 v1, 0x4a8, v0
	v_mov_b32_e32 v113, 0
	v_lshrrev_b32_e32 v1, 16, v1
	v_add_nc_u32_e32 v112, s6, v1
	s_waitcnt lgkmcnt(0)
	v_cmp_gt_u64_e32 vcc_lo, s[0:1], v[112:113]
	s_and_saveexec_b32 s0, vcc_lo
	s_cbranch_execz .LBB0_23
; %bb.1:
	s_clause 0x1
	s_load_dwordx2 s[14:15], s[4:5], 0x0
	s_load_dwordx2 s[12:13], s[4:5], 0x38
	v_mul_lo_u16 v1, v1, 55
	v_sub_nc_u16 v0, v0, v1
	v_and_b32_e32 v174, 0xffff, v0
	v_cmp_gt_u16_e32 vcc_lo, 45, v0
	v_lshlrev_b32_e32 v173, 4, v174
	s_and_saveexec_b32 s1, vcc_lo
	s_cbranch_execz .LBB0_3
; %bb.2:
	s_load_dwordx2 s[6:7], s[4:5], 0x18
	s_waitcnt lgkmcnt(0)
	v_add_co_u32 v18, s0, s14, v173
	v_add_co_ci_u32_e64 v19, null, s15, 0, s0
	v_add_co_u32 v22, s0, 0x800, v18
	v_add_co_ci_u32_e64 v23, s0, 0, v19, s0
	v_add_co_u32 v32, s0, 0x1000, v18
	v_add_co_ci_u32_e64 v33, s0, 0, v19, s0
	;; [unrolled: 2-line block ×3, first 2 shown]
	s_load_dwordx4 s[8:11], s[6:7], 0x0
	s_clause 0x2
	global_load_dwordx4 v[0:3], v173, s[14:15]
	global_load_dwordx4 v[4:7], v173, s[14:15] offset:720
	global_load_dwordx4 v[8:11], v173, s[14:15] offset:1440
	s_waitcnt lgkmcnt(0)
	v_mad_u64_u32 v[20:21], null, s8, v174, 0
	v_mad_u64_u32 v[12:13], null, s10, v112, 0
	s_mul_i32 s6, s9, 0x2d0
	s_mul_hi_u32 s7, s8, 0x2d0
	s_add_i32 s7, s7, s6
	v_mov_b32_e32 v14, v21
	v_mad_u64_u32 v[15:16], null, s11, v112, v[13:14]
	v_mad_u64_u32 v[16:17], null, s9, v174, v[14:15]
	v_mov_b32_e32 v13, v15
	v_lshlrev_b64 v[24:25], 4, v[12:13]
	v_mov_b32_e32 v21, v16
	s_clause 0x1
	global_load_dwordx4 v[12:15], v[22:23], off offset:112
	global_load_dwordx4 v[16:19], v[22:23], off offset:832
	v_add_co_u32 v24, s0, s2, v24
	v_lshlrev_b64 v[20:21], 4, v[20:21]
	v_add_co_ci_u32_e64 v25, s0, s3, v25, s0
	s_mul_i32 s2, s8, 0x2d0
	v_add_co_u32 v36, s0, v24, v20
	v_add_co_ci_u32_e64 v37, s0, v25, v21, s0
	global_load_dwordx4 v[20:23], v[22:23], off offset:1552
	v_add_co_u32 v40, s0, v36, s2
	v_add_co_ci_u32_e64 v41, s0, s7, v37, s0
	s_clause 0x1
	global_load_dwordx4 v[24:27], v[32:33], off offset:224
	global_load_dwordx4 v[28:31], v[32:33], off offset:944
	v_add_co_u32 v44, s0, v40, s2
	v_add_co_ci_u32_e64 v45, s0, s7, v41, s0
	global_load_dwordx4 v[32:35], v[32:33], off offset:1664
	v_add_co_u32 v48, s0, v44, s2
	v_add_co_ci_u32_e64 v49, s0, s7, v45, s0
	s_clause 0x1
	global_load_dwordx4 v[36:39], v[36:37], off
	global_load_dwordx4 v[40:43], v[40:41], off
	v_add_co_u32 v52, s0, v48, s2
	v_add_co_ci_u32_e64 v53, s0, s7, v49, s0
	s_clause 0x1
	global_load_dwordx4 v[44:47], v[44:45], off
	global_load_dwordx4 v[48:51], v[48:49], off
	v_add_co_u32 v56, s0, v52, s2
	v_add_co_ci_u32_e64 v57, s0, s7, v53, s0
	global_load_dwordx4 v[52:55], v[52:53], off
	v_add_co_u32 v60, s0, v56, s2
	v_add_co_ci_u32_e64 v61, s0, s7, v57, s0
	;; [unrolled: 3-line block ×5, first 2 shown]
	v_add_co_u32 v84, s0, v72, s2
	v_add_co_ci_u32_e64 v85, s0, s7, v73, s0
	global_load_dwordx4 v[68:71], v[68:69], off
	global_load_dwordx4 v[72:75], v[72:73], off
	s_clause 0x1
	global_load_dwordx4 v[76:79], v[80:81], off offset:336
	global_load_dwordx4 v[80:83], v[80:81], off offset:1056
	global_load_dwordx4 v[84:87], v[84:85], off
	s_waitcnt vmcnt(12)
	v_mul_f64 v[88:89], v[38:39], v[2:3]
	v_mul_f64 v[2:3], v[36:37], v[2:3]
	s_waitcnt vmcnt(11)
	v_mul_f64 v[90:91], v[42:43], v[6:7]
	v_mul_f64 v[6:7], v[40:41], v[6:7]
	;; [unrolled: 3-line block ×11, first 2 shown]
	v_fma_f64 v[34:35], v[36:37], v[0:1], v[88:89]
	v_fma_f64 v[36:37], v[38:39], v[0:1], -v[2:3]
	v_fma_f64 v[0:1], v[40:41], v[4:5], v[90:91]
	v_fma_f64 v[2:3], v[42:43], v[4:5], -v[6:7]
	;; [unrolled: 2-line block ×11, first 2 shown]
	ds_write_b128 v173, v[34:37]
	ds_write_b128 v173, v[0:3] offset:720
	ds_write_b128 v173, v[4:7] offset:1440
	;; [unrolled: 1-line block ×10, first 2 shown]
.LBB0_3:
	s_or_b32 exec_lo, exec_lo, s1
	s_clause 0x1
	s_load_dwordx2 s[0:1], s[4:5], 0x20
	s_load_dwordx2 s[2:3], s[4:5], 0x8
	s_waitcnt lgkmcnt(0)
	s_barrier
	buffer_gl0_inv
                                        ; implicit-def: $vgpr4_vgpr5
                                        ; implicit-def: $vgpr44_vgpr45
                                        ; implicit-def: $vgpr40_vgpr41
                                        ; implicit-def: $vgpr36_vgpr37
                                        ; implicit-def: $vgpr32_vgpr33
                                        ; implicit-def: $vgpr28_vgpr29
                                        ; implicit-def: $vgpr24_vgpr25
                                        ; implicit-def: $vgpr20_vgpr21
                                        ; implicit-def: $vgpr16_vgpr17
                                        ; implicit-def: $vgpr12_vgpr13
                                        ; implicit-def: $vgpr8_vgpr9
	s_and_saveexec_b32 s4, vcc_lo
	s_cbranch_execz .LBB0_5
; %bb.4:
	ds_read_b128 v[4:7], v173
	ds_read_b128 v[44:47], v173 offset:720
	ds_read_b128 v[40:43], v173 offset:1440
	ds_read_b128 v[36:39], v173 offset:2160
	ds_read_b128 v[32:35], v173 offset:2880
	ds_read_b128 v[28:31], v173 offset:3600
	ds_read_b128 v[24:27], v173 offset:4320
	ds_read_b128 v[20:23], v173 offset:5040
	ds_read_b128 v[16:19], v173 offset:5760
	ds_read_b128 v[12:15], v173 offset:6480
	ds_read_b128 v[8:11], v173 offset:7200
.LBB0_5:
	s_or_b32 exec_lo, exec_lo, s4
	s_waitcnt lgkmcnt(0)
	v_add_f64 v[121:122], v[46:47], -v[10:11]
	v_add_f64 v[52:53], v[44:45], -v[8:9]
	s_mov_b32 s4, 0xf8bb580b
	s_mov_b32 s6, 0x8eee2c13
	;; [unrolled: 1-line block ×4, first 2 shown]
	v_add_f64 v[50:51], v[44:45], v[8:9]
	v_add_f64 v[123:124], v[46:47], v[10:11]
	v_add_f64 v[104:105], v[42:43], -v[14:15]
	v_add_f64 v[48:49], v[40:41], -v[12:13]
	s_mov_b32 s8, 0x8764f0ba
	s_mov_b32 s10, 0xd9c712b6
	;; [unrolled: 1-line block ×6, first 2 shown]
	v_add_f64 v[108:109], v[40:41], v[12:13]
	v_add_f64 v[129:130], v[42:43], v[14:15]
	v_add_f64 v[113:114], v[38:39], -v[18:19]
	v_add_f64 v[78:79], v[36:37], -v[16:17]
	s_mov_b32 s20, 0x43842ef
	s_mov_b32 s18, 0x7f775887
	v_mul_f64 v[54:55], v[121:122], s[4:5]
	v_mul_f64 v[56:57], v[52:53], s[4:5]
	;; [unrolled: 1-line block ×4, first 2 shown]
	s_mov_b32 s34, 0xfd768dbf
	s_mov_b32 s21, 0xbfefac9e
	;; [unrolled: 1-line block ×4, first 2 shown]
	v_mul_f64 v[76:77], v[104:105], s[6:7]
	v_mul_f64 v[88:89], v[48:49], s[6:7]
	;; [unrolled: 1-line block ×4, first 2 shown]
	v_add_f64 v[90:91], v[36:37], v[16:17]
	v_add_f64 v[131:132], v[38:39], v[18:19]
	v_add_f64 v[58:59], v[32:33], -v[20:21]
	v_add_f64 v[72:73], v[34:35], -v[22:23]
	s_mov_b32 s24, 0x640f44db
	s_mov_b32 s22, 0x9bcd5057
	v_mul_f64 v[66:67], v[113:114], s[20:21]
	v_mul_f64 v[80:81], v[78:79], s[20:21]
	;; [unrolled: 1-line block ×4, first 2 shown]
	v_fma_f64 v[0:1], v[50:51], s[8:9], v[54:55]
	v_fma_f64 v[2:3], v[123:124], s[8:9], -v[56:57]
	v_fma_f64 v[60:61], v[50:51], s[10:11], v[125:126]
	v_fma_f64 v[62:63], v[123:124], s[10:11], -v[127:128]
	s_mov_b32 s25, 0xbfc2375f
	s_mov_b32 s23, 0xbfeeb42a
	;; [unrolled: 1-line block ×4, first 2 shown]
	v_fma_f64 v[64:65], v[108:109], s[10:11], v[76:77]
	v_fma_f64 v[68:69], v[129:130], s[10:11], -v[88:89]
	v_fma_f64 v[70:71], v[108:109], s[18:19], v[74:75]
	v_fma_f64 v[86:87], v[129:130], s[18:19], -v[119:120]
	v_add_f64 v[115:116], v[34:35], v[22:23]
	v_add_f64 v[84:85], v[30:31], -v[26:27]
	v_mul_f64 v[92:93], v[58:59], s[16:17]
	v_mul_f64 v[82:83], v[72:73], s[16:17]
	;; [unrolled: 1-line block ×4, first 2 shown]
	v_fma_f64 v[133:134], v[90:91], s[24:25], v[66:67]
	v_fma_f64 v[135:136], v[131:132], s[24:25], -v[80:81]
	v_fma_f64 v[137:138], v[90:91], s[22:23], v[100:101]
	v_fma_f64 v[139:140], v[131:132], s[22:23], -v[106:107]
	v_add_f64 v[0:1], v[4:5], v[0:1]
	v_add_f64 v[2:3], v[6:7], v[2:3]
	;; [unrolled: 1-line block ×5, first 2 shown]
	v_add_f64 v[60:61], v[28:29], -v[24:25]
	s_mov_b32 s31, 0xbfd207e7
	s_mov_b32 s27, 0x3fe14ced
	;; [unrolled: 1-line block ×4, first 2 shown]
	v_add_f64 v[117:118], v[30:31], v[26:27]
	v_mul_lo_u16 v175, v174, 11
	s_barrier
	v_fma_f64 v[143:144], v[115:116], s[18:19], -v[92:93]
	buffer_gl0_inv
	v_fma_f64 v[147:148], v[115:116], s[24:25], -v[110:111]
	v_add_f64 v[0:1], v[64:65], v[0:1]
	v_add_f64 v[2:3], v[68:69], v[2:3]
	;; [unrolled: 1-line block ×5, first 2 shown]
	v_mul_f64 v[86:87], v[84:85], s[30:31]
	v_mul_f64 v[94:95], v[60:61], s[30:31]
	;; [unrolled: 1-line block ×4, first 2 shown]
	v_fma_f64 v[141:142], v[62:63], s[18:19], v[82:83]
	v_fma_f64 v[145:146], v[62:63], s[24:25], v[96:97]
	v_add_f64 v[0:1], v[133:134], v[0:1]
	v_add_f64 v[2:3], v[135:136], v[2:3]
	;; [unrolled: 1-line block ×4, first 2 shown]
	v_fma_f64 v[133:134], v[64:65], s[22:23], v[86:87]
	v_fma_f64 v[135:136], v[117:118], s[22:23], -v[94:95]
	v_fma_f64 v[137:138], v[64:65], s[8:9], v[98:99]
	v_fma_f64 v[139:140], v[117:118], s[8:9], -v[102:103]
	v_add_f64 v[0:1], v[141:142], v[0:1]
	v_add_f64 v[2:3], v[143:144], v[2:3]
	;; [unrolled: 1-line block ×8, first 2 shown]
	s_and_saveexec_b32 s33, vcc_lo
	s_cbranch_execz .LBB0_7
; %bb.6:
	v_add_f64 v[46:47], v[6:7], v[46:47]
	v_add_f64 v[44:45], v[4:5], v[44:45]
	v_mul_f64 v[135:136], v[121:122], s[30:31]
	v_mul_f64 v[133:134], v[123:124], s[22:23]
	;; [unrolled: 1-line block ×5, first 2 shown]
	s_mov_b32 s37, 0x3fe82f19
	s_mov_b32 s36, s16
	v_mul_f64 v[139:140], v[123:124], s[24:25]
	v_mul_f64 v[143:144], v[123:124], s[10:11]
	;; [unrolled: 1-line block ×9, first 2 shown]
	s_mov_b32 s39, 0x3fed1bb4
	s_mov_b32 s38, s6
	v_mul_f64 v[149:150], v[129:130], s[18:19]
	v_mul_f64 v[157:158], v[129:130], s[22:23]
	v_add_f64 v[42:43], v[46:47], v[42:43]
	v_add_f64 v[40:41], v[44:45], v[40:41]
	v_fma_f64 v[184:185], v[50:51], s[22:23], v[135:136]
	v_mul_f64 v[46:47], v[113:114], s[16:17]
	v_fma_f64 v[182:183], v[52:53], s[34:35], v[133:134]
	v_fma_f64 v[133:134], v[52:53], s[30:31], v[133:134]
	v_fma_f64 v[135:136], v[50:51], s[22:23], -v[135:136]
	v_fma_f64 v[186:187], v[52:53], s[36:37], v[137:138]
	v_fma_f64 v[188:189], v[50:51], s[18:19], v[141:142]
	;; [unrolled: 1-line block ×4, first 2 shown]
	v_mul_f64 v[104:105], v[104:105], s[34:35]
	v_mul_f64 v[161:162], v[131:132], s[8:9]
	;; [unrolled: 1-line block ×5, first 2 shown]
	v_fma_f64 v[192:193], v[52:53], s[28:29], v[139:140]
	v_fma_f64 v[52:53], v[52:53], s[20:21], v[139:140]
	v_fma_f64 v[139:140], v[50:51], s[18:19], -v[141:142]
	v_fma_f64 v[141:142], v[48:49], s[4:5], v[151:152]
	v_fma_f64 v[151:152], v[48:49], s[26:27], v[151:152]
	;; [unrolled: 1-line block ×3, first 2 shown]
	v_add_f64 v[38:39], v[42:43], v[38:39]
	v_add_f64 v[36:37], v[40:41], v[36:37]
	;; [unrolled: 1-line block ×3, first 2 shown]
	v_fma_f64 v[153:154], v[108:109], s[8:9], -v[153:154]
	v_fma_f64 v[198:199], v[108:109], s[24:25], v[159:160]
	v_add_f64 v[133:134], v[6:7], v[133:134]
	v_add_f64 v[135:136], v[4:5], v[135:136]
	;; [unrolled: 1-line block ×5, first 2 shown]
	v_add_f64 v[54:55], v[147:148], -v[54:55]
	v_fma_f64 v[123:124], v[48:49], s[28:29], v[155:156]
	v_add_f64 v[137:138], v[6:7], v[137:138]
	v_mul_f64 v[178:179], v[108:109], s[18:19]
	v_mul_f64 v[44:45], v[131:132], s[18:19]
	v_add_f64 v[182:183], v[6:7], v[182:183]
	v_mul_f64 v[163:164], v[113:114], s[4:5]
	v_mul_f64 v[171:172], v[131:132], s[10:11]
	;; [unrolled: 1-line block ×5, first 2 shown]
	v_fma_f64 v[155:156], v[108:109], s[22:23], v[104:105]
	v_add_f64 v[34:35], v[38:39], v[34:35]
	v_add_f64 v[32:33], v[36:37], v[32:33]
	;; [unrolled: 1-line block ×3, first 2 shown]
	v_fma_f64 v[38:39], v[50:51], s[24:25], v[121:122]
	v_fma_f64 v[50:51], v[50:51], s[24:25], -v[121:122]
	v_add_f64 v[121:122], v[145:146], -v[125:126]
	v_fma_f64 v[127:128], v[90:91], s[18:19], v[46:47]
	v_add_f64 v[147:148], v[196:197], v[184:185]
	v_add_f64 v[133:134], v[151:152], v[133:134]
	;; [unrolled: 1-line block ×5, first 2 shown]
	v_fma_f64 v[186:187], v[62:63], s[10:11], v[190:191]
	v_fma_f64 v[188:189], v[62:63], s[10:11], -v[190:191]
	v_add_f64 v[139:140], v[4:5], v[139:140]
	v_add_f64 v[190:191], v[6:7], v[192:193]
	;; [unrolled: 1-line block ×3, first 2 shown]
	v_fma_f64 v[104:105], v[108:109], s[22:23], -v[104:105]
	v_add_f64 v[52:53], v[6:7], v[52:53]
	v_add_f64 v[88:89], v[88:89], v[129:130]
	v_add_f64 v[76:77], v[176:177], -v[76:77]
	v_mul_f64 v[131:132], v[90:91], s[22:23]
	v_add_f64 v[30:31], v[34:35], v[30:31]
	v_add_f64 v[28:29], v[32:33], v[28:29]
	v_fma_f64 v[32:33], v[48:49], s[30:31], v[157:158]
	v_fma_f64 v[34:35], v[108:109], s[24:25], -v[159:160]
	v_fma_f64 v[159:160], v[78:79], s[4:5], v[161:162]
	v_add_f64 v[38:39], v[4:5], v[38:39]
	v_add_f64 v[50:51], v[4:5], v[50:51]
	;; [unrolled: 1-line block ×7, first 2 shown]
	v_add_f64 v[74:75], v[178:179], -v[74:75]
	v_mul_f64 v[165:166], v[115:116], s[10:11]
	v_mul_f64 v[167:168], v[115:116], s[22:23]
	v_fma_f64 v[125:126], v[78:79], s[36:37], v[44:45]
	v_fma_f64 v[44:45], v[78:79], s[16:17], v[44:45]
	;; [unrolled: 1-line block ×3, first 2 shown]
	v_add_f64 v[141:142], v[141:142], v[182:183]
	v_fma_f64 v[46:47], v[90:91], s[18:19], -v[46:47]
	v_fma_f64 v[145:146], v[90:91], s[8:9], v[163:164]
	v_add_f64 v[106:107], v[106:107], v[180:181]
	v_add_f64 v[26:27], v[30:31], v[26:27]
	;; [unrolled: 1-line block ×3, first 2 shown]
	v_mul_f64 v[28:29], v[113:114], s[38:39]
	v_fma_f64 v[30:31], v[48:49], s[34:35], v[157:158]
	v_add_f64 v[48:49], v[119:120], v[149:150]
	v_add_f64 v[54:55], v[159:160], v[123:124]
	v_mul_f64 v[123:124], v[115:116], s[18:19]
	v_add_f64 v[113:114], v[186:187], v[127:128]
	v_fma_f64 v[127:128], v[90:91], s[8:9], -v[163:164]
	v_add_f64 v[42:43], v[80:81], v[42:43]
	v_add_f64 v[6:7], v[88:89], v[6:7]
	v_add_f64 v[40:41], v[40:41], -v[66:67]
	v_add_f64 v[4:5], v[76:77], v[4:5]
	v_add_f64 v[100:101], v[131:132], -v[100:101]
	v_add_f64 v[74:75], v[74:75], v[108:109]
	v_mul_f64 v[169:170], v[72:73], s[30:31]
	v_fma_f64 v[161:162], v[58:59], s[6:7], v[165:166]
	v_fma_f64 v[182:183], v[58:59], s[34:35], v[167:168]
	v_add_f64 v[125:126], v[125:126], v[141:142]
	v_add_f64 v[44:45], v[44:45], v[133:134]
	;; [unrolled: 1-line block ×6, first 2 shown]
	v_fma_f64 v[24:25], v[78:79], s[6:7], v[171:172]
	v_fma_f64 v[26:27], v[78:79], s[38:39], v[171:172]
	v_mul_f64 v[78:79], v[62:63], s[18:19]
	v_add_f64 v[30:31], v[30:31], v[52:53]
	v_fma_f64 v[129:130], v[90:91], s[10:11], v[28:29]
	v_fma_f64 v[28:29], v[90:91], s[10:11], -v[28:29]
	v_mul_f64 v[90:91], v[115:116], s[24:25]
	v_add_f64 v[36:37], v[48:49], v[36:37]
	v_mul_f64 v[115:116], v[115:116], s[8:9]
	v_mul_f64 v[48:49], v[62:63], s[24:25]
	;; [unrolled: 1-line block ×3, first 2 shown]
	v_add_f64 v[34:35], v[34:35], v[139:140]
	v_add_f64 v[32:33], v[32:33], v[190:191]
	v_add_f64 v[38:39], v[155:156], v[38:39]
	v_mul_f64 v[80:81], v[117:118], s[22:23]
	v_mul_f64 v[52:53], v[117:118], s[24:25]
	;; [unrolled: 1-line block ×6, first 2 shown]
	v_add_f64 v[18:19], v[22:23], v[18:19]
	v_add_f64 v[16:17], v[20:21], v[16:17]
	;; [unrolled: 1-line block ×4, first 2 shown]
	v_add_f64 v[42:43], v[78:79], -v[82:83]
	v_add_f64 v[26:27], v[26:27], v[30:31]
	v_add_f64 v[4:5], v[40:41], v[4:5]
	v_mul_f64 v[88:89], v[64:65], s[8:9]
	v_add_f64 v[30:31], v[110:111], v[90:91]
	v_add_f64 v[36:37], v[106:107], v[36:37]
	v_fma_f64 v[106:107], v[58:59], s[4:5], v[115:116]
	v_add_f64 v[48:49], v[48:49], -v[96:97]
	v_add_f64 v[20:21], v[100:101], v[74:75]
	v_add_f64 v[56:57], v[161:162], v[125:126]
	;; [unrolled: 1-line block ×3, first 2 shown]
	v_mul_f64 v[125:126], v[84:85], s[20:21]
	v_mul_f64 v[133:134], v[84:85], s[38:39]
	;; [unrolled: 1-line block ×3, first 2 shown]
	v_fma_f64 v[96:97], v[62:63], s[8:9], -v[72:73]
	v_add_f64 v[22:23], v[28:29], v[50:51]
	v_fma_f64 v[110:111], v[58:59], s[30:31], v[167:168]
	v_fma_f64 v[137:138], v[62:63], s[22:23], -v[169:170]
	v_add_f64 v[28:29], v[127:128], v[34:35]
	v_fma_f64 v[165:166], v[58:59], s[38:39], v[165:166]
	v_add_f64 v[46:47], v[46:47], v[135:136]
	v_fma_f64 v[184:185], v[62:63], s[22:23], v[169:170]
	v_add_f64 v[135:136], v[145:146], v[153:154]
	v_fma_f64 v[34:35], v[58:59], s[26:27], v[115:116]
	v_add_f64 v[24:25], v[24:25], v[32:33]
	v_fma_f64 v[32:33], v[62:63], s[8:9], v[72:73]
	v_add_f64 v[38:39], v[129:130], v[38:39]
	v_add_f64 v[72:73], v[94:95], v[80:81]
	;; [unrolled: 1-line block ×4, first 2 shown]
	v_fma_f64 v[58:59], v[60:61], s[16:17], v[117:118]
	v_add_f64 v[26:27], v[106:107], v[26:27]
	v_add_f64 v[66:67], v[102:103], v[66:67]
	;; [unrolled: 1-line block ×4, first 2 shown]
	v_add_f64 v[78:79], v[131:132], -v[86:87]
	v_add_f64 v[42:43], v[42:43], v[4:5]
	v_add_f64 v[36:37], v[88:89], -v[98:99]
	v_add_f64 v[20:21], v[48:49], v[20:21]
	v_fma_f64 v[62:63], v[64:65], s[18:19], -v[84:85]
	v_add_f64 v[48:49], v[96:97], v[22:23]
	v_fma_f64 v[40:41], v[60:61], s[38:39], v[104:105]
	v_add_f64 v[50:51], v[110:111], v[54:55]
	v_fma_f64 v[54:55], v[64:65], s[10:11], -v[133:134]
	v_add_f64 v[82:83], v[137:138], v[28:29]
	v_add_f64 v[44:45], v[165:166], v[44:45]
	;; [unrolled: 1-line block ×3, first 2 shown]
	v_fma_f64 v[76:77], v[60:61], s[28:29], v[52:53]
	v_fma_f64 v[108:109], v[64:65], s[24:25], v[125:126]
	;; [unrolled: 1-line block ×3, first 2 shown]
	v_fma_f64 v[125:126], v[64:65], s[24:25], -v[125:126]
	v_add_f64 v[121:122], v[184:185], v[135:136]
	v_fma_f64 v[135:136], v[60:61], s[6:7], v[104:105]
	v_fma_f64 v[90:91], v[64:65], s[10:11], v[133:134]
	;; [unrolled: 1-line block ×3, first 2 shown]
	v_add_f64 v[86:87], v[34:35], v[24:25]
	v_fma_f64 v[64:65], v[64:65], s[18:19], v[84:85]
	v_add_f64 v[84:85], v[32:33], v[38:39]
	v_add_f64 v[10:11], v[80:81], v[10:11]
	;; [unrolled: 1-line block ×11, first 2 shown]
	v_mov_b32_e32 v40, 4
	v_add_f64 v[6:7], v[76:77], v[56:57]
	v_add_f64 v[4:5], v[108:109], v[113:114]
	;; [unrolled: 1-line block ×4, first 2 shown]
	v_lshlrev_b32_sdwa v40, v40, v175 dst_sel:DWORD dst_unused:UNUSED_PAD src0_sel:DWORD src1_sel:WORD_0
	v_add_f64 v[34:35], v[135:136], v[119:120]
	v_add_f64 v[32:33], v[90:91], v[121:122]
	;; [unrolled: 1-line block ×4, first 2 shown]
	ds_write_b128 v40, v[8:11]
	ds_write_b128 v40, v[28:31] offset:16
	ds_write_b128 v40, v[24:27] offset:32
	;; [unrolled: 1-line block ×10, first 2 shown]
.LBB0_7:
	s_or_b32 exec_lo, exec_lo, s33
	v_and_b32_e32 v4, 0xff, v174
	s_load_dwordx4 s[4:7], s[0:1], 0x0
	s_waitcnt lgkmcnt(0)
	s_barrier
	buffer_gl0_inv
	v_mul_lo_u16 v4, 0x75, v4
	s_mov_b32 s8, 0x8c811c17
	s_mov_b32 s10, 0xa2cf5039
	;; [unrolled: 1-line block ×4, first 2 shown]
	v_lshrrev_b16 v4, 8, v4
	s_mov_b32 s9, 0x3fef838b
	s_mov_b32 s11, 0x3fe8836f
	;; [unrolled: 1-line block ×4, first 2 shown]
	v_sub_nc_u16 v5, v174, v4
	v_lshrrev_b16 v5, 1, v5
	v_and_b32_e32 v5, 0x7f, v5
	v_add_nc_u16 v4, v5, v4
	v_lshrrev_b16 v125, 3, v4
	v_mul_lo_u16 v4, v125, 11
	v_sub_nc_u16 v4, v174, v4
	v_and_b32_e32 v126, 0xff, v4
	v_lshlrev_b32_e32 v4, 7, v126
	s_clause 0x7
	global_load_dwordx4 v[28:31], v4, s[2:3]
	global_load_dwordx4 v[36:39], v4, s[2:3] offset:112
	global_load_dwordx4 v[32:35], v4, s[2:3] offset:48
	;; [unrolled: 1-line block ×7, first 2 shown]
	ds_read_b128 v[8:11], v173 offset:880
	ds_read_b128 v[16:19], v173 offset:7040
	;; [unrolled: 1-line block ×8, first 2 shown]
	s_waitcnt vmcnt(7) lgkmcnt(7)
	v_mul_f64 v[72:73], v[10:11], v[30:31]
	v_mul_f64 v[74:75], v[8:9], v[30:31]
	s_waitcnt vmcnt(6) lgkmcnt(6)
	v_mul_f64 v[76:77], v[18:19], v[38:39]
	v_mul_f64 v[78:79], v[16:17], v[38:39]
	;; [unrolled: 3-line block ×6, first 2 shown]
	v_fma_f64 v[72:73], v[8:9], v[28:29], -v[72:73]
	v_fma_f64 v[74:75], v[10:11], v[28:29], v[74:75]
	ds_read_b128 v[8:11], v173
	v_fma_f64 v[16:17], v[16:17], v[36:37], -v[76:77]
	v_fma_f64 v[18:19], v[18:19], v[36:37], v[78:79]
	v_fma_f64 v[20:21], v[20:21], v[32:33], -v[80:81]
	v_fma_f64 v[22:23], v[22:23], v[32:33], v[82:83]
	;; [unrolled: 2-line block ×5, first 2 shown]
	s_waitcnt vmcnt(1) lgkmcnt(2)
	v_mul_f64 v[76:77], v[62:63], v[14:15]
	v_mul_f64 v[78:79], v[60:61], v[14:15]
	s_waitcnt vmcnt(0) lgkmcnt(1)
	v_mul_f64 v[80:81], v[66:67], v[6:7]
	v_mul_f64 v[82:83], v[64:65], v[6:7]
	s_waitcnt lgkmcnt(0)
	s_barrier
	buffer_gl0_inv
	v_add_f64 v[84:85], v[72:73], -v[16:17]
	v_add_f64 v[86:87], v[74:75], -v[18:19]
	v_add_f64 v[16:17], v[72:73], v[16:17]
	v_add_f64 v[18:19], v[74:75], v[18:19]
	v_add_f64 v[72:73], v[20:21], v[24:25]
	v_add_f64 v[74:75], v[22:23], v[26:27]
	v_add_f64 v[88:89], v[20:21], -v[24:25]
	v_add_f64 v[90:91], v[22:23], -v[26:27]
	v_add_f64 v[92:93], v[52:53], v[56:57]
	v_add_f64 v[94:95], v[54:55], v[58:59]
	v_fma_f64 v[60:61], v[60:61], v[12:13], -v[76:77]
	v_fma_f64 v[62:63], v[62:63], v[12:13], v[78:79]
	v_fma_f64 v[64:65], v[64:65], v[4:5], -v[80:81]
	v_fma_f64 v[66:67], v[66:67], v[4:5], v[82:83]
	v_add_f64 v[52:53], v[52:53], -v[56:57]
	v_add_f64 v[54:55], v[54:55], -v[58:59]
	v_mul_f64 v[56:57], v[84:85], s[0:1]
	v_mul_f64 v[58:59], v[86:87], s[0:1]
	v_fma_f64 v[76:77], v[16:17], s[10:11], v[8:9]
	v_fma_f64 v[78:79], v[18:19], s[10:11], v[10:11]
	s_mov_b32 s1, 0xbfe491b7
	v_fma_f64 v[80:81], v[72:73], s[10:11], v[8:9]
	v_fma_f64 v[82:83], v[74:75], s[10:11], v[10:11]
	v_mul_f64 v[96:97], v[88:89], s[8:9]
	v_mul_f64 v[98:99], v[90:91], s[8:9]
	v_fma_f64 v[100:101], v[92:93], s[10:11], v[8:9]
	v_fma_f64 v[102:103], v[94:95], s[10:11], v[10:11]
	v_mul_f64 v[104:105], v[90:91], s[0:1]
	v_mul_f64 v[106:107], v[88:89], s[0:1]
	v_add_f64 v[108:109], v[60:61], v[64:65]
	v_add_f64 v[110:111], v[62:63], v[66:67]
	;; [unrolled: 1-line block ×4, first 2 shown]
	v_add_f64 v[60:61], v[60:61], -v[64:65]
	v_add_f64 v[62:63], v[62:63], -v[66:67]
	s_mov_b32 s10, 0xe8584cab
	s_mov_b32 s11, 0x3febb67a
	v_fma_f64 v[56:57], v[52:53], s[8:9], v[56:57]
	v_fma_f64 v[58:59], v[54:55], s[8:9], v[58:59]
	;; [unrolled: 1-line block ×6, first 2 shown]
	v_fma_f64 v[80:81], v[52:53], s[0:1], -v[96:97]
	v_fma_f64 v[82:83], v[54:55], s[0:1], -v[98:99]
	v_fma_f64 v[96:97], v[72:73], s[16:17], v[100:101]
	v_fma_f64 v[98:99], v[74:75], s[16:17], v[102:103]
	;; [unrolled: 1-line block ×4, first 2 shown]
	v_add_f64 v[104:105], v[88:89], v[84:85]
	v_add_f64 v[106:107], v[90:91], v[86:87]
	;; [unrolled: 1-line block ×8, first 2 shown]
	s_mov_b32 s1, 0xbfebb67a
	s_mov_b32 s0, s10
	v_fma_f64 v[56:57], v[60:61], s[10:11], v[56:57]
	v_fma_f64 v[64:65], v[108:109], -0.5, v[64:65]
	v_fma_f64 v[66:67], v[110:111], -0.5, v[66:67]
	v_fma_f64 v[58:59], v[62:63], s[10:11], v[58:59]
	v_fma_f64 v[76:77], v[108:109], -0.5, v[76:77]
	v_fma_f64 v[78:79], v[110:111], -0.5, v[78:79]
	v_fma_f64 v[80:81], v[60:61], s[10:11], v[80:81]
	v_fma_f64 v[82:83], v[62:63], s[10:11], v[82:83]
	v_fma_f64 v[96:97], v[108:109], -0.5, v[96:97]
	v_fma_f64 v[98:99], v[110:111], -0.5, v[98:99]
	v_fma_f64 v[62:63], v[62:63], s[0:1], v[100:101]
	v_fma_f64 v[60:61], v[60:61], s[0:1], v[102:103]
	s_mov_b32 s8, 0x748a0bf8
	s_mov_b32 s16, 0x42522d1b
	;; [unrolled: 1-line block ×4, first 2 shown]
	v_add_f64 v[20:21], v[20:21], v[113:114]
	v_add_f64 v[22:23], v[22:23], v[115:116]
	v_add_f64 v[100:101], v[104:105], -v[52:53]
	v_add_f64 v[102:103], v[106:107], -v[54:55]
	v_fma_f64 v[104:105], v[121:122], -0.5, v[117:118]
	v_fma_f64 v[106:107], v[123:124], -0.5, v[119:120]
	v_fma_f64 v[56:57], v[88:89], s[8:9], v[56:57]
	v_fma_f64 v[64:65], v[72:73], s[16:17], v[64:65]
	;; [unrolled: 1-line block ×12, first 2 shown]
	v_add_f64 v[88:89], v[24:25], v[20:21]
	v_add_f64 v[90:91], v[26:27], v[22:23]
	v_mul_f64 v[84:85], v[100:101], s[10:11]
	v_mul_f64 v[86:87], v[102:103], s[10:11]
	v_fma_f64 v[16:17], v[102:103], s[10:11], v[104:105]
	v_fma_f64 v[18:19], v[100:101], s[0:1], v[106:107]
	v_cmp_gt_u16_e64 s0, 44, v174
	v_add_f64 v[22:23], v[66:67], -v[56:57]
	v_add_f64 v[20:21], v[58:59], v[64:65]
	v_mov_b32_e32 v64, 0x63
	v_add_f64 v[24:25], v[78:79], v[80:81]
	v_add_f64 v[26:27], v[82:83], -v[76:77]
	v_add_f64 v[52:53], v[62:63], v[72:73]
	v_add_f64 v[54:55], v[74:75], -v[60:61]
	v_add_f64 v[8:9], v[8:9], v[88:89]
	v_add_f64 v[10:11], v[10:11], v[90:91]
	v_fma_f64 v[80:81], v[86:87], -2.0, v[16:17]
	v_fma_f64 v[82:83], v[84:85], 2.0, v[18:19]
	v_fma_f64 v[90:91], v[56:57], 2.0, v[22:23]
	v_fma_f64 v[88:89], v[58:59], -2.0, v[20:21]
	v_mul_u32_u24_sdwa v56, v125, v64 dst_sel:DWORD dst_unused:UNUSED_PAD src0_sel:WORD_0 src1_sel:DWORD
	v_fma_f64 v[72:73], v[78:79], -2.0, v[24:25]
	v_fma_f64 v[74:75], v[76:77], 2.0, v[26:27]
	v_fma_f64 v[84:85], v[62:63], -2.0, v[52:53]
	v_fma_f64 v[86:87], v[60:61], 2.0, v[54:55]
	v_add_lshl_u32 v176, v56, v126, 4
	ds_write_b128 v176, v[16:19] offset:528
	ds_write_b128 v176, v[8:11]
	ds_write_b128 v176, v[20:23] offset:176
	ds_write_b128 v176, v[24:27] offset:704
	;; [unrolled: 1-line block ×7, first 2 shown]
	s_waitcnt lgkmcnt(0)
	s_barrier
	buffer_gl0_inv
	ds_read_b128 v[76:79], v173
	ds_read_b128 v[104:107], v173 offset:1584
	ds_read_b128 v[100:103], v173 offset:3168
	;; [unrolled: 1-line block ×4, first 2 shown]
	s_and_saveexec_b32 s1, s0
	s_cbranch_execz .LBB0_9
; %bb.8:
	ds_read_b128 v[72:75], v173 offset:880
	ds_read_b128 v[80:83], v173 offset:2464
	;; [unrolled: 1-line block ×5, first 2 shown]
.LBB0_9:
	s_or_b32 exec_lo, exec_lo, s1
	v_add_co_u32 v8, s1, v174, 55
	v_add_co_ci_u32_e64 v9, null, 0, 0, s1
	v_add_co_u32 v10, s1, 0xffffffd4, v174
	v_add_co_ci_u32_e64 v11, null, 0, -1, s1
	v_lshlrev_b32_e32 v16, 6, v174
	v_cndmask_b32_e64 v8, v10, v8, s0
	s_mov_b32 s8, 0x134454ff
	v_cndmask_b32_e64 v9, v11, v9, s0
	s_mov_b32 s9, 0x3fee6f0e
	s_clause 0x3
	global_load_dwordx4 v[52:55], v16, s[2:3] offset:1408
	global_load_dwordx4 v[64:67], v16, s[2:3] offset:1424
	;; [unrolled: 1-line block ×4, first 2 shown]
	s_mov_b32 s17, 0xbfee6f0e
	v_lshlrev_b64 v[8:9], 6, v[8:9]
	s_mov_b32 s16, s8
	s_mov_b32 s11, 0xbfe2cf23
	v_add_co_u32 v16, s1, s2, v8
	v_add_co_ci_u32_e64 v17, s1, s3, v9, s1
	s_mov_b32 s2, 0x4755a5e
	s_clause 0x3
	global_load_dwordx4 v[8:11], v[16:17], off offset:1408
	global_load_dwordx4 v[24:27], v[16:17], off offset:1424
	global_load_dwordx4 v[20:23], v[16:17], off offset:1440
	global_load_dwordx4 v[16:19], v[16:17], off offset:1456
	s_mov_b32 s3, 0x3fe2cf23
	s_mov_b32 s10, s2
	s_waitcnt vmcnt(6) lgkmcnt(2)
	v_mul_f64 v[113:114], v[102:103], v[66:67]
	v_mul_f64 v[108:109], v[106:107], v[54:55]
	v_mul_f64 v[110:111], v[104:105], v[54:55]
	v_mul_f64 v[115:116], v[100:101], v[66:67]
	s_waitcnt vmcnt(5) lgkmcnt(1)
	v_mul_f64 v[117:118], v[94:95], v[62:63]
	s_waitcnt vmcnt(4) lgkmcnt(0)
	v_mul_f64 v[119:120], v[96:97], v[58:59]
	v_mul_f64 v[121:122], v[92:93], v[62:63]
	;; [unrolled: 1-line block ×3, first 2 shown]
	s_waitcnt vmcnt(3)
	v_mul_f64 v[125:126], v[82:83], v[10:11]
	v_mul_f64 v[127:128], v[80:81], v[10:11]
	s_waitcnt vmcnt(2)
	v_mul_f64 v[129:130], v[86:87], v[26:27]
	v_mul_f64 v[131:132], v[84:85], v[26:27]
	;; [unrolled: 3-line block ×4, first 2 shown]
	v_fma_f64 v[100:101], v[100:101], v[64:65], -v[113:114]
	v_fma_f64 v[104:105], v[104:105], v[52:53], -v[108:109]
	v_fma_f64 v[106:107], v[106:107], v[52:53], v[110:111]
	v_fma_f64 v[102:103], v[102:103], v[64:65], v[115:116]
	v_fma_f64 v[92:93], v[92:93], v[60:61], -v[117:118]
	v_fma_f64 v[98:99], v[98:99], v[56:57], v[119:120]
	v_fma_f64 v[94:95], v[94:95], v[60:61], v[121:122]
	v_fma_f64 v[96:97], v[96:97], v[56:57], -v[123:124]
	v_fma_f64 v[80:81], v[80:81], v[8:9], -v[125:126]
	v_fma_f64 v[82:83], v[82:83], v[8:9], v[127:128]
	v_fma_f64 v[84:85], v[84:85], v[24:25], -v[129:130]
	v_fma_f64 v[86:87], v[86:87], v[24:25], v[131:132]
	;; [unrolled: 2-line block ×4, first 2 shown]
	v_add_f64 v[108:109], v[76:77], v[104:105]
	v_add_f64 v[117:118], v[104:105], -v[100:101]
	v_add_f64 v[123:124], v[100:101], -v[104:105]
	v_add_f64 v[110:111], v[100:101], v[92:93]
	v_add_f64 v[137:138], v[106:107], v[98:99]
	;; [unrolled: 1-line block ×4, first 2 shown]
	v_add_f64 v[113:114], v[106:107], -v[98:99]
	v_add_f64 v[115:116], v[102:103], -v[94:95]
	;; [unrolled: 1-line block ×4, first 2 shown]
	v_add_f64 v[127:128], v[78:79], v[106:107]
	v_add_f64 v[104:105], v[104:105], -v[96:97]
	v_add_f64 v[131:132], v[100:101], -v[92:93]
	v_add_f64 v[133:134], v[106:107], -v[102:103]
	v_add_f64 v[135:136], v[98:99], -v[94:95]
	v_add_f64 v[106:107], v[102:103], -v[106:107]
	v_add_f64 v[141:142], v[84:85], v[88:89]
	v_add_f64 v[149:150], v[86:87], v[90:91]
	;; [unrolled: 1-line block ×4, first 2 shown]
	v_add_f64 v[139:140], v[94:95], -v[98:99]
	v_add_f64 v[143:144], v[72:73], v[80:81]
	v_add_f64 v[147:148], v[82:83], -v[70:71]
	v_add_f64 v[151:152], v[86:87], -v[90:91]
	;; [unrolled: 1-line block ×5, first 2 shown]
	v_add_f64 v[163:164], v[74:75], v[82:83]
	v_add_f64 v[80:81], v[80:81], -v[68:69]
	v_add_f64 v[165:166], v[84:85], -v[88:89]
	v_fma_f64 v[110:111], v[110:111], -0.5, v[76:77]
	v_fma_f64 v[76:77], v[121:122], -0.5, v[76:77]
	;; [unrolled: 1-line block ×4, first 2 shown]
	v_add_f64 v[100:101], v[108:109], v[100:101]
	v_add_f64 v[161:162], v[88:89], -v[68:69]
	v_add_f64 v[167:168], v[82:83], -v[86:87]
	v_add_f64 v[121:122], v[70:71], -v[90:91]
	v_fma_f64 v[141:142], v[141:142], -0.5, v[72:73]
	v_fma_f64 v[108:109], v[149:150], -0.5, v[74:75]
	;; [unrolled: 1-line block ×4, first 2 shown]
	v_add_f64 v[82:83], v[86:87], -v[82:83]
	v_add_f64 v[137:138], v[90:91], -v[70:71]
	v_add_f64 v[117:118], v[117:118], v[119:120]
	v_add_f64 v[119:120], v[123:124], v[125:126]
	;; [unrolled: 1-line block ×8, first 2 shown]
	v_fma_f64 v[106:107], v[113:114], s[8:9], v[110:111]
	v_fma_f64 v[110:111], v[113:114], s[16:17], v[110:111]
	;; [unrolled: 1-line block ×16, first 2 shown]
	v_add_f64 v[133:134], v[159:160], v[161:162]
	v_add_f64 v[121:122], v[167:168], v[121:122]
	;; [unrolled: 1-line block ×7, first 2 shown]
	v_fma_f64 v[88:89], v[115:116], s[2:3], v[106:107]
	v_fma_f64 v[90:91], v[115:116], s[10:11], v[110:111]
	;; [unrolled: 1-line block ×16, first 2 shown]
	s_mov_b32 s2, 0x372fe950
	s_mov_b32 s3, 0x3fd3c6ef
	v_add_f64 v[72:73], v[92:93], v[96:97]
	v_add_f64 v[74:75], v[94:95], v[98:99]
	;; [unrolled: 1-line block ×4, first 2 shown]
	v_fma_f64 v[108:109], v[117:118], s[2:3], v[88:89]
	v_fma_f64 v[96:97], v[117:118], s[2:3], v[90:91]
	;; [unrolled: 1-line block ×16, first 2 shown]
	ds_write_b128 v173, v[72:75]
	ds_write_b128 v173, v[108:111] offset:1584
	ds_write_b128 v173, v[104:107] offset:3168
	;; [unrolled: 1-line block ×4, first 2 shown]
	s_and_saveexec_b32 s1, s0
	s_cbranch_execz .LBB0_11
; %bb.10:
	ds_write_b128 v173, v[92:95] offset:880
	ds_write_b128 v173, v[88:91] offset:2464
	;; [unrolled: 1-line block ×5, first 2 shown]
.LBB0_11:
	s_or_b32 exec_lo, exec_lo, s1
	s_waitcnt lgkmcnt(0)
	s_barrier
	buffer_gl0_inv
	s_and_saveexec_b32 s2, vcc_lo
	s_cbranch_execz .LBB0_13
; %bb.12:
	v_add_co_u32 v137, s1, s14, v173
	v_add_co_ci_u32_e64 v138, null, s15, 0, s1
	v_add_co_u32 v117, s1, 0x1ef0, v137
	v_add_co_ci_u32_e64 v118, s1, 0, v138, s1
	v_add_co_u32 v68, s1, 0x1800, v137
	v_add_co_ci_u32_e64 v69, s1, 0, v138, s1
	;; [unrolled: 2-line block ×5, first 2 shown]
	v_add_co_u32 v149, s1, 0x3800, v137
	s_clause 0x6
	global_load_dwordx4 v[68:71], v[68:69], off offset:1776
	global_load_dwordx4 v[113:116], v[117:118], off offset:720
	;; [unrolled: 1-line block ×7, first 2 shown]
	v_add_co_ci_u32_e64 v150, s1, 0, v138, s1
	s_clause 0x3
	global_load_dwordx4 v[137:140], v[141:142], off offset:672
	global_load_dwordx4 v[141:144], v[141:142], off offset:1392
	global_load_dwordx4 v[145:148], v[149:150], off offset:64
	global_load_dwordx4 v[149:152], v[149:150], off offset:784
	ds_read_b128 v[153:156], v173
	ds_read_b128 v[157:160], v173 offset:720
	ds_read_b128 v[161:164], v173 offset:1440
	;; [unrolled: 1-line block ×10, first 2 shown]
	s_waitcnt vmcnt(10) lgkmcnt(10)
	v_mul_f64 v[201:202], v[155:156], v[70:71]
	v_mul_f64 v[70:71], v[153:154], v[70:71]
	s_waitcnt vmcnt(9) lgkmcnt(9)
	v_mul_f64 v[203:204], v[159:160], v[115:116]
	v_mul_f64 v[115:116], v[157:158], v[115:116]
	;; [unrolled: 3-line block ×11, first 2 shown]
	v_fma_f64 v[151:152], v[153:154], v[68:69], -v[201:202]
	v_fma_f64 v[153:154], v[155:156], v[68:69], v[70:71]
	v_fma_f64 v[68:69], v[157:158], v[113:114], -v[203:204]
	v_fma_f64 v[70:71], v[159:160], v[113:114], v[115:116]
	;; [unrolled: 2-line block ×11, first 2 shown]
	ds_write_b128 v173, v[151:154]
	ds_write_b128 v173, v[68:71] offset:720
	ds_write_b128 v173, v[113:116] offset:1440
	;; [unrolled: 1-line block ×10, first 2 shown]
.LBB0_13:
	s_or_b32 exec_lo, exec_lo, s2
	s_waitcnt lgkmcnt(0)
	s_barrier
	buffer_gl0_inv
	s_and_saveexec_b32 s1, vcc_lo
	s_cbranch_execz .LBB0_15
; %bb.14:
	ds_read_b128 v[72:75], v173
	ds_read_b128 v[108:111], v173 offset:720
	ds_read_b128 v[104:107], v173 offset:1440
	;; [unrolled: 1-line block ×10, first 2 shown]
.LBB0_15:
	s_or_b32 exec_lo, exec_lo, s1
	s_waitcnt lgkmcnt(0)
	v_add_f64 v[153:154], v[110:111], -v[2:3]
	v_add_f64 v[157:158], v[110:111], v[2:3]
	s_mov_b32 s2, 0xd9c712b6
	s_mov_b32 s16, 0x8eee2c13
	;; [unrolled: 1-line block ×4, first 2 shown]
	v_add_f64 v[149:150], v[108:109], v[0:1]
	v_add_f64 v[159:160], v[108:109], -v[0:1]
	v_add_f64 v[121:122], v[106:107], -v[78:79]
	v_add_f64 v[113:114], v[106:107], v[78:79]
	s_mov_b32 s8, 0x7f775887
	s_mov_b32 s18, 0xbb3a28a1
	;; [unrolled: 1-line block ×4, first 2 shown]
	v_add_f64 v[115:116], v[104:105], v[76:77]
	v_add_f64 v[127:128], v[104:105], -v[76:77]
	v_add_f64 v[129:130], v[102:103], -v[82:83]
	v_add_f64 v[117:118], v[102:103], v[82:83]
	s_mov_b32 s10, 0x9bcd5057
	s_mov_b32 s24, 0xfd768dbf
	;; [unrolled: 1-line block ×4, first 2 shown]
	v_mul_f64 v[169:170], v[153:154], s[16:17]
	v_mul_f64 v[171:172], v[157:158], s[2:3]
	v_add_f64 v[119:120], v[100:101], v[80:81]
	v_add_f64 v[135:136], v[100:101], -v[80:81]
	v_add_f64 v[123:124], v[98:99], v[86:87]
	v_add_f64 v[137:138], v[98:99], -v[86:87]
	s_mov_b32 s20, 0x640f44db
	s_mov_b32 s28, 0x43842ef
	v_mul_f64 v[145:146], v[121:122], s[18:19]
	v_mul_f64 v[147:148], v[113:114], s[8:9]
	s_mov_b32 s21, 0xbfc2375f
	s_mov_b32 s29, 0x3fefac9e
	v_add_f64 v[125:126], v[96:97], v[84:85]
	v_add_f64 v[139:140], v[96:97], -v[84:85]
	v_add_f64 v[131:132], v[94:95], v[90:91]
	v_add_f64 v[141:142], v[94:95], -v[90:91]
	v_mul_f64 v[151:152], v[129:130], s[24:25]
	v_mul_f64 v[155:156], v[117:118], s[10:11]
	s_mov_b32 s22, 0x8764f0ba
	s_mov_b32 s26, 0xf8bb580b
	;; [unrolled: 1-line block ×3, first 2 shown]
	v_fma_f64 v[68:69], v[149:150], s[2:3], -v[169:170]
	v_fma_f64 v[70:71], v[159:160], s[16:17], v[171:172]
	s_barrier
	buffer_gl0_inv
	v_mul_f64 v[163:164], v[123:124], s[20:21]
	v_mul_f64 v[161:162], v[137:138], s[28:29]
	v_fma_f64 v[133:134], v[115:116], s[8:9], -v[145:146]
	v_fma_f64 v[143:144], v[127:128], s[18:19], v[147:148]
	v_mul_f64 v[167:168], v[131:132], s[22:23]
	v_mul_f64 v[165:166], v[141:142], s[26:27]
	v_fma_f64 v[177:178], v[119:120], s[10:11], -v[151:152]
	v_fma_f64 v[179:180], v[135:136], s[24:25], v[155:156]
	v_add_f64 v[68:69], v[72:73], v[68:69]
	v_add_f64 v[70:71], v[74:75], v[70:71]
	v_fma_f64 v[183:184], v[139:140], s[28:29], v[163:164]
	v_fma_f64 v[181:182], v[125:126], s[20:21], -v[161:162]
	v_add_f64 v[68:69], v[133:134], v[68:69]
	v_add_f64 v[70:71], v[143:144], v[70:71]
	;; [unrolled: 1-line block ×3, first 2 shown]
	v_add_f64 v[143:144], v[92:93], -v[88:89]
	v_add_f64 v[68:69], v[177:178], v[68:69]
	v_add_f64 v[70:71], v[179:180], v[70:71]
	v_fma_f64 v[177:178], v[133:134], s[22:23], -v[165:166]
	v_fma_f64 v[179:180], v[143:144], s[26:27], v[167:168]
	v_add_f64 v[68:69], v[181:182], v[68:69]
	v_add_f64 v[70:71], v[183:184], v[70:71]
	;; [unrolled: 1-line block ×4, first 2 shown]
	s_and_saveexec_b32 s1, vcc_lo
	s_cbranch_execz .LBB0_17
; %bb.16:
	v_add_f64 v[108:109], v[72:73], v[108:109]
	v_add_f64 v[110:111], v[74:75], v[110:111]
	s_mov_b32 s30, s24
	s_mov_b32 s35, 0xbfefac9e
	;; [unrolled: 1-line block ×5, first 2 shown]
	v_mul_f64 v[181:182], v[143:144], s[36:37]
	v_mul_f64 v[183:184], v[141:142], s[36:37]
	v_add_f64 v[104:105], v[108:109], v[104:105]
	v_add_f64 v[106:107], v[110:111], v[106:107]
	;; [unrolled: 1-line block ×4, first 2 shown]
	v_mul_f64 v[104:105], v[153:154], s[30:31]
	v_mul_f64 v[106:107], v[153:154], s[34:35]
	v_add_f64 v[96:97], v[100:101], v[96:97]
	v_add_f64 v[98:99], v[102:103], v[98:99]
	v_mul_f64 v[102:103], v[153:154], s[18:19]
	v_add_f64 v[92:93], v[96:97], v[92:93]
	v_add_f64 v[94:95], v[98:99], v[94:95]
	v_mul_f64 v[96:97], v[127:128], s[26:27]
	v_mul_f64 v[98:99], v[121:122], s[26:27]
	v_fma_f64 v[110:111], v[149:150], s[8:9], -v[102:103]
	v_fma_f64 v[102:103], v[149:150], s[8:9], v[102:103]
	v_add_f64 v[88:89], v[92:93], v[88:89]
	v_add_f64 v[90:91], v[94:95], v[90:91]
	;; [unrolled: 1-line block ×8, first 2 shown]
	v_mul_f64 v[84:85], v[159:160], s[30:31]
	v_mul_f64 v[86:87], v[159:160], s[34:35]
	v_add_f64 v[76:77], v[80:81], v[76:77]
	v_add_f64 v[78:79], v[82:83], v[78:79]
	v_mul_f64 v[80:81], v[143:144], s[26:27]
	s_mov_b32 s27, 0xbfe14ced
	v_mul_f64 v[82:83], v[159:160], s[18:19]
	v_mul_f64 v[88:89], v[159:160], s[26:27]
	;; [unrolled: 1-line block ×3, first 2 shown]
	v_fma_f64 v[92:93], v[157:158], s[10:11], v[84:85]
	v_fma_f64 v[84:85], v[157:158], s[10:11], -v[84:85]
	v_fma_f64 v[94:95], v[157:158], s[20:21], -v[86:87]
	v_fma_f64 v[86:87], v[157:158], s[20:21], v[86:87]
	v_fma_f64 v[153:154], v[149:150], s[10:11], -v[104:105]
	v_fma_f64 v[104:105], v[149:150], s[10:11], v[104:105]
	v_add_f64 v[0:1], v[76:77], v[0:1]
	v_mul_f64 v[76:77], v[159:160], s[16:17]
	v_add_f64 v[2:3], v[78:79], v[2:3]
	v_mul_f64 v[78:79], v[149:150], s[2:3]
	v_fma_f64 v[90:91], v[157:158], s[8:9], v[82:83]
	v_fma_f64 v[82:83], v[157:158], s[8:9], -v[82:83]
	v_fma_f64 v[100:101], v[157:158], s[22:23], v[88:89]
	v_fma_f64 v[88:89], v[157:158], s[22:23], -v[88:89]
	;; [unrolled: 2-line block ×3, first 2 shown]
	v_fma_f64 v[159:160], v[149:150], s[22:23], -v[108:109]
	v_fma_f64 v[108:109], v[149:150], s[22:23], v[108:109]
	v_add_f64 v[153:154], v[72:73], v[153:154]
	v_add_f64 v[84:85], v[74:75], v[84:85]
	;; [unrolled: 1-line block ×3, first 2 shown]
	v_add_f64 v[80:81], v[167:168], -v[80:81]
	v_mul_f64 v[167:168], v[137:138], s[26:27]
	v_add_f64 v[76:77], v[171:172], -v[76:77]
	v_add_f64 v[171:172], v[74:75], v[92:93]
	v_add_f64 v[78:79], v[78:79], v[169:170]
	;; [unrolled: 1-line block ×11, first 2 shown]
	v_mul_f64 v[86:87], v[135:136], s[26:27]
	v_add_f64 v[100:101], v[74:75], v[100:101]
	v_add_f64 v[149:150], v[74:75], v[76:77]
	v_mul_f64 v[76:77], v[127:128], s[28:29]
	v_add_f64 v[169:170], v[72:73], v[78:79]
	v_mul_f64 v[78:79], v[121:122], s[28:29]
	v_fma_f64 v[88:89], v[117:118], s[22:23], v[86:87]
	v_fma_f64 v[72:73], v[113:114], s[20:21], v[76:77]
	v_fma_f64 v[76:77], v[113:114], s[20:21], -v[76:77]
	v_fma_f64 v[74:75], v[115:116], s[20:21], -v[78:79]
	v_fma_f64 v[78:79], v[115:116], s[20:21], v[78:79]
	v_add_f64 v[72:73], v[72:73], v[90:91]
	v_add_f64 v[76:77], v[76:77], v[82:83]
	;; [unrolled: 1-line block ×3, first 2 shown]
	v_fma_f64 v[82:83], v[117:118], s[22:23], -v[86:87]
	v_add_f64 v[78:79], v[78:79], v[102:103]
	v_fma_f64 v[86:87], v[133:134], s[2:3], v[183:184]
	v_mul_f64 v[102:103], v[119:120], s[10:11]
	v_add_f64 v[72:73], v[88:89], v[72:73]
	v_mul_f64 v[88:89], v[129:130], s[26:27]
	v_add_f64 v[76:77], v[82:83], v[76:77]
	v_add_f64 v[102:103], v[102:103], v[151:152]
	v_mul_f64 v[151:152], v[141:142], s[34:35]
	v_fma_f64 v[90:91], v[119:120], s[22:23], -v[88:89]
	v_fma_f64 v[82:83], v[119:120], s[22:23], v[88:89]
	v_mul_f64 v[88:89], v[127:128], s[18:19]
	v_add_f64 v[74:75], v[90:91], v[74:75]
	v_mul_f64 v[90:91], v[139:140], s[30:31]
	v_add_f64 v[78:79], v[82:83], v[78:79]
	v_add_f64 v[88:89], v[147:148], -v[88:89]
	v_mul_f64 v[147:148], v[137:138], s[36:37]
	v_fma_f64 v[110:111], v[123:124], s[10:11], v[90:91]
	v_fma_f64 v[82:83], v[123:124], s[10:11], -v[90:91]
	v_mul_f64 v[90:91], v[115:116], s[8:9]
	v_add_f64 v[88:89], v[88:89], v[149:150]
	v_mul_f64 v[149:150], v[143:144], s[34:35]
	v_add_f64 v[72:73], v[110:111], v[72:73]
	v_mul_f64 v[110:111], v[137:138], s[30:31]
	v_add_f64 v[76:77], v[82:83], v[76:77]
	v_add_f64 v[90:91], v[90:91], v[145:146]
	v_mul_f64 v[145:146], v[139:140], s[36:37]
	v_mul_f64 v[137:138], v[137:138], s[18:19]
	v_fma_f64 v[82:83], v[125:126], s[10:11], v[110:111]
	v_fma_f64 v[179:180], v[125:126], s[10:11], -v[110:111]
	v_add_f64 v[90:91], v[90:91], v[169:170]
	v_mul_f64 v[110:111], v[125:126], s[20:21]
	v_mul_f64 v[169:170], v[143:144], s[18:19]
	v_mul_f64 v[143:144], v[143:144], s[30:31]
	v_add_f64 v[82:83], v[82:83], v[78:79]
	v_fma_f64 v[78:79], v[131:132], s[2:3], -v[181:182]
	v_add_f64 v[179:180], v[179:180], v[74:75]
	v_add_f64 v[110:111], v[110:111], v[161:162]
	v_mul_f64 v[161:162], v[121:122], s[24:25]
	v_fma_f64 v[74:75], v[131:132], s[2:3], v[181:182]
	v_mul_f64 v[121:122], v[121:122], s[16:17]
	v_add_f64 v[78:79], v[78:79], v[76:77]
	v_add_f64 v[76:77], v[86:87], v[82:83]
	v_mul_f64 v[86:87], v[135:136], s[24:25]
	v_mul_f64 v[82:83], v[139:140], s[28:29]
	v_add_f64 v[74:75], v[74:75], v[72:73]
	v_fma_f64 v[72:73], v[133:134], s[2:3], -v[183:184]
	v_add_f64 v[86:87], v[155:156], -v[86:87]
	v_add_f64 v[82:83], v[163:164], -v[82:83]
	v_mul_f64 v[155:156], v[127:128], s[24:25]
	v_mul_f64 v[163:164], v[129:130], s[36:37]
	v_add_f64 v[72:73], v[72:73], v[179:180]
	v_mul_f64 v[179:180], v[141:142], s[18:19]
	v_mul_f64 v[127:128], v[127:128], s[16:17]
	;; [unrolled: 1-line block ×3, first 2 shown]
	v_add_f64 v[86:87], v[86:87], v[88:89]
	v_add_f64 v[88:89], v[102:103], v[90:91]
	v_mul_f64 v[90:91], v[133:134], s[22:23]
	v_mul_f64 v[102:103], v[135:136], s[18:19]
	v_add_f64 v[82:83], v[82:83], v[86:87]
	v_add_f64 v[86:87], v[110:111], v[88:89]
	;; [unrolled: 1-line block ×3, first 2 shown]
	v_fma_f64 v[88:89], v[117:118], s[8:9], -v[102:103]
	v_mul_f64 v[110:111], v[129:130], s[18:19]
	v_mul_f64 v[165:166], v[139:140], s[26:27]
	;; [unrolled: 1-line block ×3, first 2 shown]
	v_fma_f64 v[102:103], v[117:118], s[8:9], v[102:103]
	v_add_f64 v[82:83], v[80:81], v[82:83]
	v_add_f64 v[80:81], v[90:91], v[86:87]
	v_fma_f64 v[86:87], v[113:114], s[22:23], -v[96:97]
	v_fma_f64 v[90:91], v[115:116], s[10:11], v[161:162]
	v_fma_f64 v[96:97], v[113:114], s[22:23], v[96:97]
	v_add_f64 v[84:85], v[86:87], v[84:85]
	v_fma_f64 v[86:87], v[115:116], s[22:23], v[98:99]
	v_add_f64 v[90:91], v[90:91], v[104:105]
	v_mul_f64 v[104:105], v[135:136], s[36:37]
	v_fma_f64 v[98:99], v[115:116], s[22:23], -v[98:99]
	v_add_f64 v[96:97], v[96:97], v[171:172]
	v_add_f64 v[84:85], v[88:89], v[84:85]
	;; [unrolled: 1-line block ×3, first 2 shown]
	v_fma_f64 v[88:89], v[119:120], s[8:9], v[110:111]
	v_fma_f64 v[92:93], v[117:118], s[2:3], -v[104:105]
	v_add_f64 v[98:99], v[98:99], v[153:154]
	v_fma_f64 v[104:105], v[117:118], s[2:3], v[104:105]
	v_fma_f64 v[110:111], v[119:120], s[8:9], -v[110:111]
	v_add_f64 v[96:97], v[102:103], v[96:97]
	v_add_f64 v[86:87], v[88:89], v[86:87]
	v_fma_f64 v[88:89], v[123:124], s[2:3], -v[145:146]
	v_add_f64 v[98:99], v[110:111], v[98:99]
	v_fma_f64 v[110:111], v[123:124], s[22:23], v[165:166]
	v_add_f64 v[84:85], v[88:89], v[84:85]
	v_fma_f64 v[88:89], v[125:126], s[2:3], v[147:148]
	v_add_f64 v[88:89], v[88:89], v[86:87]
	v_fma_f64 v[86:87], v[131:132], s[20:21], -v[149:150]
	v_add_f64 v[86:87], v[86:87], v[84:85]
	v_fma_f64 v[84:85], v[133:134], s[20:21], v[151:152]
	v_add_f64 v[84:85], v[84:85], v[88:89]
	v_fma_f64 v[88:89], v[113:114], s[10:11], -v[155:156]
	v_add_f64 v[88:89], v[88:89], v[94:95]
	v_fma_f64 v[94:95], v[115:116], s[2:3], v[121:122]
	v_add_f64 v[88:89], v[92:93], v[88:89]
	v_fma_f64 v[92:93], v[119:120], s[2:3], v[163:164]
	v_add_f64 v[94:95], v[94:95], v[108:109]
	v_mul_f64 v[108:109], v[135:136], s[34:35]
	v_add_f64 v[90:91], v[92:93], v[90:91]
	v_fma_f64 v[92:93], v[123:124], s[22:23], -v[165:166]
	v_fma_f64 v[135:136], v[117:118], s[20:21], -v[108:109]
	v_fma_f64 v[108:109], v[117:118], s[20:21], v[108:109]
	v_fma_f64 v[117:118], v[119:120], s[20:21], -v[129:130]
	v_add_f64 v[88:89], v[92:93], v[88:89]
	v_fma_f64 v[92:93], v[125:126], s[22:23], v[167:168]
	v_add_f64 v[92:93], v[92:93], v[90:91]
	v_fma_f64 v[90:91], v[131:132], s[8:9], -v[169:170]
	v_add_f64 v[90:91], v[90:91], v[88:89]
	v_fma_f64 v[88:89], v[133:134], s[8:9], v[179:180]
	v_add_f64 v[88:89], v[88:89], v[92:93]
	v_fma_f64 v[92:93], v[113:114], s[2:3], -v[127:128]
	v_add_f64 v[92:93], v[92:93], v[177:178]
	v_add_f64 v[92:93], v[135:136], v[92:93]
	v_mul_f64 v[135:136], v[139:140], s[18:19]
	v_fma_f64 v[139:140], v[123:124], s[8:9], -v[135:136]
	v_add_f64 v[92:93], v[139:140], v[92:93]
	v_fma_f64 v[139:140], v[119:120], s[20:21], v[129:130]
	v_add_f64 v[94:95], v[139:140], v[94:95]
	v_fma_f64 v[139:140], v[125:126], s[8:9], v[137:138]
	v_add_f64 v[139:140], v[139:140], v[94:95]
	v_fma_f64 v[94:95], v[131:132], s[10:11], -v[143:144]
	v_add_f64 v[94:95], v[94:95], v[92:93]
	v_fma_f64 v[92:93], v[133:134], s[10:11], v[141:142]
	v_add_f64 v[92:93], v[92:93], v[139:140]
	v_fma_f64 v[139:140], v[113:114], s[10:11], v[155:156]
	v_fma_f64 v[113:114], v[113:114], s[2:3], v[127:128]
	v_fma_f64 v[127:128], v[115:116], s[10:11], -v[161:162]
	v_fma_f64 v[115:116], v[115:116], s[2:3], -v[121:122]
	v_add_f64 v[121:122], v[139:140], v[157:158]
	v_add_f64 v[100:101], v[113:114], v[100:101]
	;; [unrolled: 1-line block ×3, first 2 shown]
	v_fma_f64 v[113:114], v[119:120], s[2:3], -v[163:164]
	v_add_f64 v[115:116], v[115:116], v[159:160]
	v_fma_f64 v[119:120], v[125:126], s[22:23], -v[167:168]
	v_add_f64 v[102:103], v[104:105], v[121:122]
	v_add_f64 v[100:101], v[108:109], v[100:101]
	v_fma_f64 v[108:109], v[125:126], s[2:3], -v[147:148]
	v_add_f64 v[104:105], v[113:114], v[106:107]
	v_fma_f64 v[106:107], v[123:124], s[2:3], v[145:146]
	v_fma_f64 v[113:114], v[123:124], s[8:9], v[135:136]
	v_fma_f64 v[121:122], v[125:126], s[8:9], -v[137:138]
	v_add_f64 v[115:116], v[117:118], v[115:116]
	v_fma_f64 v[117:118], v[133:134], s[8:9], -v[179:180]
	v_add_f64 v[102:103], v[110:111], v[102:103]
	v_fma_f64 v[110:111], v[131:132], s[10:11], v[143:144]
	v_add_f64 v[104:105], v[119:120], v[104:105]
	v_add_f64 v[96:97], v[106:107], v[96:97]
	;; [unrolled: 1-line block ×3, first 2 shown]
	v_fma_f64 v[98:99], v[131:132], s[20:21], v[149:150]
	v_add_f64 v[113:114], v[113:114], v[100:101]
	v_fma_f64 v[100:101], v[133:134], s[20:21], -v[151:152]
	v_fma_f64 v[108:109], v[131:132], s[8:9], v[169:170]
	v_fma_f64 v[119:120], v[133:134], s[10:11], -v[141:142]
	v_add_f64 v[115:116], v[121:122], v[115:116]
	v_add_f64 v[98:99], v[98:99], v[96:97]
	;; [unrolled: 1-line block ×7, first 2 shown]
	v_mov_b32_e32 v108, 4
	v_lshlrev_b32_sdwa v108, v108, v175 dst_sel:DWORD dst_unused:UNUSED_PAD src0_sel:DWORD src1_sel:WORD_0
	ds_write_b128 v108, v[0:3]
	ds_write_b128 v108, v[92:95] offset:16
	ds_write_b128 v108, v[80:83] offset:32
	;; [unrolled: 1-line block ×10, first 2 shown]
.LBB0_17:
	s_or_b32 exec_lo, exec_lo, s1
	s_waitcnt lgkmcnt(0)
	s_barrier
	buffer_gl0_inv
	ds_read_b128 v[0:3], v173 offset:880
	ds_read_b128 v[72:75], v173 offset:7040
	ds_read_b128 v[76:79], v173 offset:3520
	ds_read_b128 v[80:83], v173 offset:4400
	ds_read_b128 v[84:87], v173 offset:1760
	ds_read_b128 v[88:91], v173 offset:6160
	ds_read_b128 v[92:95], v173 offset:2640
	ds_read_b128 v[96:99], v173 offset:5280
	s_mov_b32 s8, 0x8c811c17
	s_mov_b32 s10, 0xa2cf5039
	;; [unrolled: 1-line block ×8, first 2 shown]
	s_waitcnt lgkmcnt(7)
	v_mul_f64 v[100:101], v[30:31], v[2:3]
	v_mul_f64 v[30:31], v[30:31], v[0:1]
	s_waitcnt lgkmcnt(6)
	v_mul_f64 v[102:103], v[38:39], v[74:75]
	v_mul_f64 v[38:39], v[38:39], v[72:73]
	;; [unrolled: 3-line block ×6, first 2 shown]
	v_fma_f64 v[100:101], v[28:29], v[0:1], v[100:101]
	v_fma_f64 v[28:29], v[28:29], v[2:3], -v[30:31]
	ds_read_b128 v[0:3], v173
	v_fma_f64 v[30:31], v[36:37], v[72:73], v[102:103]
	v_fma_f64 v[36:37], v[36:37], v[74:75], -v[38:39]
	v_fma_f64 v[38:39], v[32:33], v[76:77], v[104:105]
	v_fma_f64 v[32:33], v[32:33], v[78:79], -v[34:35]
	;; [unrolled: 2-line block ×5, first 2 shown]
	s_waitcnt lgkmcnt(2)
	v_mul_f64 v[42:43], v[14:15], v[94:95]
	v_mul_f64 v[14:15], v[14:15], v[92:93]
	s_waitcnt lgkmcnt(1)
	v_mul_f64 v[72:73], v[6:7], v[98:99]
	v_mul_f64 v[6:7], v[6:7], v[96:97]
	s_waitcnt lgkmcnt(0)
	s_barrier
	buffer_gl0_inv
	v_add_f64 v[74:75], v[100:101], -v[30:31]
	v_add_f64 v[76:77], v[28:29], -v[36:37]
	v_add_f64 v[30:31], v[100:101], v[30:31]
	v_add_f64 v[28:29], v[28:29], v[36:37]
	;; [unrolled: 1-line block ×4, first 2 shown]
	v_add_f64 v[80:81], v[38:39], -v[34:35]
	v_add_f64 v[82:83], v[32:33], -v[48:49]
	v_add_f64 v[84:85], v[50:51], v[46:47]
	v_add_f64 v[86:87], v[44:45], v[40:41]
	v_fma_f64 v[42:43], v[12:13], v[92:93], v[42:43]
	v_fma_f64 v[12:13], v[12:13], v[94:95], -v[14:15]
	v_fma_f64 v[14:15], v[4:5], v[96:97], v[72:73]
	v_fma_f64 v[4:5], v[4:5], v[98:99], -v[6:7]
	v_add_f64 v[6:7], v[50:51], -v[46:47]
	v_add_f64 v[40:41], v[44:45], -v[40:41]
	v_mul_f64 v[44:45], v[74:75], s[2:3]
	v_mul_f64 v[46:47], v[76:77], s[2:3]
	v_fma_f64 v[50:51], v[30:31], s[10:11], v[0:1]
	v_fma_f64 v[72:73], v[28:29], s[10:11], v[2:3]
	s_mov_b32 s3, 0xbfe491b7
	v_fma_f64 v[88:89], v[36:37], s[10:11], v[0:1]
	v_fma_f64 v[90:91], v[78:79], s[10:11], v[2:3]
	v_mul_f64 v[92:93], v[80:81], s[8:9]
	v_mul_f64 v[94:95], v[82:83], s[8:9]
	v_fma_f64 v[96:97], v[84:85], s[10:11], v[0:1]
	v_fma_f64 v[98:99], v[86:87], s[10:11], v[2:3]
	v_mul_f64 v[100:101], v[82:83], s[2:3]
	v_mul_f64 v[102:103], v[80:81], s[2:3]
	v_add_f64 v[104:105], v[42:43], v[14:15]
	v_add_f64 v[106:107], v[12:13], v[4:5]
	;; [unrolled: 1-line block ×4, first 2 shown]
	v_add_f64 v[14:15], v[42:43], -v[14:15]
	v_add_f64 v[4:5], v[12:13], -v[4:5]
	s_mov_b32 s10, 0xe8584cab
	s_mov_b32 s11, 0x3febb67a
	v_fma_f64 v[12:13], v[6:7], s[8:9], v[44:45]
	v_fma_f64 v[42:43], v[40:41], s[8:9], v[46:47]
	;; [unrolled: 1-line block ×6, first 2 shown]
	v_fma_f64 v[88:89], v[6:7], s[2:3], -v[92:93]
	v_fma_f64 v[90:91], v[40:41], s[2:3], -v[94:95]
	v_fma_f64 v[92:93], v[36:37], s[16:17], v[96:97]
	v_fma_f64 v[94:95], v[78:79], s[16:17], v[98:99]
	;; [unrolled: 1-line block ×4, first 2 shown]
	v_add_f64 v[100:101], v[80:81], v[74:75]
	v_add_f64 v[102:103], v[82:83], v[76:77]
	;; [unrolled: 1-line block ×8, first 2 shown]
	s_mov_b32 s3, 0xbfebb67a
	s_mov_b32 s2, s10
	v_fma_f64 v[12:13], v[14:15], s[10:11], v[12:13]
	v_fma_f64 v[42:43], v[4:5], s[10:11], v[42:43]
	v_fma_f64 v[46:47], v[106:107], -0.5, v[46:47]
	v_fma_f64 v[44:45], v[104:105], -0.5, v[44:45]
	;; [unrolled: 1-line block ×4, first 2 shown]
	v_fma_f64 v[88:89], v[14:15], s[10:11], v[88:89]
	v_fma_f64 v[90:91], v[4:5], s[10:11], v[90:91]
	v_fma_f64 v[92:93], v[104:105], -0.5, v[92:93]
	v_fma_f64 v[94:95], v[106:107], -0.5, v[94:95]
	v_fma_f64 v[4:5], v[4:5], s[2:3], v[96:97]
	v_fma_f64 v[14:15], v[14:15], s[2:3], v[98:99]
	s_mov_b32 s8, 0x748a0bf8
	s_mov_b32 s16, 0x42522d1b
	;; [unrolled: 1-line block ×4, first 2 shown]
	v_add_f64 v[38:39], v[38:39], v[108:109]
	v_add_f64 v[104:105], v[32:33], v[110:111]
	v_add_f64 v[96:97], v[100:101], -v[6:7]
	v_add_f64 v[98:99], v[102:103], -v[40:41]
	v_fma_f64 v[100:101], v[117:118], -0.5, v[113:114]
	v_fma_f64 v[102:103], v[119:120], -0.5, v[115:116]
	v_fma_f64 v[12:13], v[80:81], s[8:9], v[12:13]
	v_fma_f64 v[80:81], v[82:83], s[8:9], v[42:43]
	;; [unrolled: 1-line block ×12, first 2 shown]
	v_add_f64 v[50:51], v[34:35], v[38:39]
	v_add_f64 v[78:79], v[48:49], v[104:105]
	v_mul_f64 v[6:7], v[96:97], s[10:11]
	v_mul_f64 v[4:5], v[98:99], s[10:11]
	v_fma_f64 v[32:33], v[98:99], s[2:3], v[100:101]
	v_fma_f64 v[34:35], v[96:97], s[10:11], v[102:103]
	v_add_f64 v[38:39], v[12:13], v[42:43]
	v_add_f64 v[36:37], v[36:37], -v[80:81]
	v_add_f64 v[40:41], v[30:31], -v[74:75]
	v_add_f64 v[42:43], v[72:73], v[28:29]
	v_add_f64 v[44:45], v[44:45], -v[76:77]
	v_add_f64 v[46:47], v[14:15], v[46:47]
	v_add_f64 v[48:49], v[0:1], v[50:51]
	;; [unrolled: 1-line block ×3, first 2 shown]
	v_fma_f64 v[4:5], v[4:5], 2.0, v[32:33]
	v_fma_f64 v[6:7], v[6:7], -2.0, v[34:35]
	v_fma_f64 v[30:31], v[12:13], -2.0, v[38:39]
	v_fma_f64 v[28:29], v[80:81], 2.0, v[36:37]
	v_fma_f64 v[0:1], v[74:75], 2.0, v[40:41]
	v_fma_f64 v[2:3], v[72:73], -2.0, v[42:43]
	v_fma_f64 v[12:13], v[76:77], 2.0, v[44:45]
	v_fma_f64 v[14:15], v[14:15], -2.0, v[46:47]
	ds_write_b128 v176, v[32:35] offset:528
	ds_write_b128 v176, v[48:51]
	ds_write_b128 v176, v[36:39] offset:176
	ds_write_b128 v176, v[40:43] offset:704
	;; [unrolled: 1-line block ×7, first 2 shown]
	s_waitcnt lgkmcnt(0)
	s_barrier
	buffer_gl0_inv
	ds_read_b128 v[32:35], v173
	ds_read_b128 v[48:51], v173 offset:1584
	ds_read_b128 v[36:39], v173 offset:3168
	;; [unrolled: 1-line block ×4, first 2 shown]
	s_and_saveexec_b32 s1, s0
	s_cbranch_execz .LBB0_19
; %bb.18:
	ds_read_b128 v[0:3], v173 offset:880
	ds_read_b128 v[4:7], v173 offset:2464
	;; [unrolled: 1-line block ×5, first 2 shown]
.LBB0_19:
	s_or_b32 exec_lo, exec_lo, s1
	s_waitcnt lgkmcnt(3)
	v_mul_f64 v[72:73], v[54:55], v[50:51]
	s_waitcnt lgkmcnt(2)
	v_mul_f64 v[74:75], v[66:67], v[38:39]
	;; [unrolled: 2-line block ×4, first 2 shown]
	v_mul_f64 v[66:67], v[66:67], v[36:37]
	v_mul_f64 v[62:63], v[62:63], v[40:41]
	;; [unrolled: 1-line block ×4, first 2 shown]
	s_mov_b32 s2, 0x134454ff
	s_mov_b32 s3, 0xbfee6f0e
	;; [unrolled: 1-line block ×10, first 2 shown]
	v_fma_f64 v[48:49], v[52:53], v[48:49], v[72:73]
	v_fma_f64 v[36:37], v[64:65], v[36:37], v[74:75]
	;; [unrolled: 1-line block ×4, first 2 shown]
	v_fma_f64 v[38:39], v[64:65], v[38:39], -v[66:67]
	v_fma_f64 v[42:43], v[60:61], v[42:43], -v[62:63]
	;; [unrolled: 1-line block ×4, first 2 shown]
	v_add_f64 v[60:61], v[32:33], v[48:49]
	v_add_f64 v[52:53], v[36:37], v[40:41]
	;; [unrolled: 1-line block ×3, first 2 shown]
	v_add_f64 v[72:73], v[48:49], -v[44:45]
	v_add_f64 v[56:57], v[38:39], v[42:43]
	v_add_f64 v[66:67], v[34:35], v[50:51]
	v_add_f64 v[58:59], v[50:51], v[46:47]
	v_add_f64 v[62:63], v[50:51], -v[46:47]
	v_add_f64 v[64:65], v[38:39], -v[42:43]
	;; [unrolled: 1-line block ×8, first 2 shown]
	v_fma_f64 v[52:53], v[52:53], -0.5, v[32:33]
	v_fma_f64 v[32:33], v[54:55], -0.5, v[32:33]
	v_add_f64 v[54:55], v[36:37], -v[40:41]
	v_fma_f64 v[56:57], v[56:57], -0.5, v[34:35]
	v_add_f64 v[38:39], v[66:67], v[38:39]
	v_fma_f64 v[34:35], v[58:59], -0.5, v[34:35]
	v_add_f64 v[58:59], v[48:49], -v[36:37]
	v_add_f64 v[48:49], v[36:37], -v[48:49]
	v_add_f64 v[36:37], v[60:61], v[36:37]
	v_add_f64 v[50:51], v[50:51], v[82:83]
	v_fma_f64 v[60:61], v[62:63], s[2:3], v[52:53]
	v_fma_f64 v[52:53], v[62:63], s[8:9], v[52:53]
	;; [unrolled: 1-line block ×8, first 2 shown]
	v_add_f64 v[36:37], v[36:37], v[40:41]
	v_add_f64 v[38:39], v[38:39], v[42:43]
	;; [unrolled: 1-line block ×5, first 2 shown]
	v_fma_f64 v[40:41], v[64:65], s[16:17], v[60:61]
	v_fma_f64 v[42:43], v[64:65], s[10:11], v[52:53]
	v_fma_f64 v[52:53], v[62:63], s[16:17], v[66:67]
	v_fma_f64 v[60:61], v[62:63], s[10:11], v[32:33]
	v_fma_f64 v[62:63], v[54:55], s[10:11], v[84:85]
	v_fma_f64 v[64:65], v[72:73], s[10:11], v[86:87]
	v_fma_f64 v[66:67], v[72:73], s[16:17], v[34:35]
	v_fma_f64 v[54:55], v[54:55], s[16:17], v[56:57]
	v_add_f64 v[32:33], v[36:37], v[44:45]
	v_add_f64 v[34:35], v[38:39], v[46:47]
	v_fma_f64 v[36:37], v[58:59], s[18:19], v[40:41]
	v_fma_f64 v[40:41], v[58:59], s[18:19], v[42:43]
	;; [unrolled: 1-line block ×8, first 2 shown]
	ds_write_b128 v173, v[32:35]
	ds_write_b128 v173, v[36:39] offset:1584
	ds_write_b128 v173, v[44:47] offset:3168
	;; [unrolled: 1-line block ×4, first 2 shown]
	s_and_saveexec_b32 s1, s0
	s_cbranch_execz .LBB0_21
; %bb.20:
	v_mul_f64 v[32:33], v[26:27], v[12:13]
	v_mul_f64 v[34:35], v[10:11], v[4:5]
	;; [unrolled: 1-line block ×8, first 2 shown]
	v_fma_f64 v[14:15], v[24:25], v[14:15], -v[32:33]
	v_fma_f64 v[6:7], v[8:9], v[6:7], -v[34:35]
	;; [unrolled: 1-line block ×4, first 2 shown]
	v_fma_f64 v[12:13], v[24:25], v[12:13], v[26:27]
	v_fma_f64 v[20:21], v[20:21], v[28:29], v[22:23]
	;; [unrolled: 1-line block ×4, first 2 shown]
	v_add_f64 v[28:29], v[2:3], v[6:7]
	v_add_f64 v[10:11], v[6:7], v[32:33]
	;; [unrolled: 1-line block ×3, first 2 shown]
	v_add_f64 v[36:37], v[6:7], -v[32:33]
	v_add_f64 v[18:19], v[12:13], v[20:21]
	v_add_f64 v[34:35], v[0:1], v[4:5]
	;; [unrolled: 1-line block ×3, first 2 shown]
	v_add_f64 v[26:27], v[4:5], -v[8:9]
	v_add_f64 v[24:25], v[12:13], -v[20:21]
	;; [unrolled: 1-line block ×8, first 2 shown]
	v_fma_f64 v[10:11], v[10:11], -0.5, v[2:3]
	v_fma_f64 v[2:3], v[16:17], -0.5, v[2:3]
	v_add_f64 v[16:17], v[14:15], -v[30:31]
	v_fma_f64 v[18:19], v[18:19], -0.5, v[0:1]
	v_add_f64 v[12:13], v[34:35], v[12:13]
	v_fma_f64 v[0:1], v[22:23], -0.5, v[0:1]
	v_add_f64 v[22:23], v[14:15], -v[6:7]
	v_add_f64 v[6:7], v[6:7], -v[14:15]
	v_add_f64 v[14:15], v[28:29], v[14:15]
	v_fma_f64 v[28:29], v[24:25], s[8:9], v[10:11]
	v_fma_f64 v[34:35], v[26:27], s[2:3], v[2:3]
	;; [unrolled: 1-line block ×8, first 2 shown]
	v_add_f64 v[22:23], v[22:23], v[38:39]
	v_add_f64 v[38:39], v[6:7], v[40:41]
	;; [unrolled: 1-line block ×6, first 2 shown]
	v_fma_f64 v[12:13], v[26:27], s[16:17], v[28:29]
	v_fma_f64 v[14:15], v[24:25], s[16:17], v[34:35]
	;; [unrolled: 1-line block ×8, first 2 shown]
	v_add_f64 v[2:3], v[4:5], v[32:33]
	v_add_f64 v[0:1], v[6:7], v[8:9]
	v_fma_f64 v[6:7], v[22:23], s[18:19], v[12:13]
	v_fma_f64 v[14:15], v[38:39], s[18:19], v[14:15]
	;; [unrolled: 1-line block ×8, first 2 shown]
	ds_write_b128 v173, v[0:3] offset:880
	ds_write_b128 v173, v[16:19] offset:2464
	ds_write_b128 v173, v[8:11] offset:4048
	ds_write_b128 v173, v[4:7] offset:5632
	ds_write_b128 v173, v[12:15] offset:7216
.LBB0_21:
	s_or_b32 exec_lo, exec_lo, s1
	s_waitcnt lgkmcnt(0)
	s_barrier
	buffer_gl0_inv
	s_and_b32 exec_lo, exec_lo, vcc_lo
	s_cbranch_execz .LBB0_23
; %bb.22:
	v_add_co_u32 v28, s0, s14, v173
	v_add_co_ci_u32_e64 v29, null, s15, 0, s0
	s_clause 0x2
	global_load_dwordx4 v[0:3], v173, s[14:15]
	global_load_dwordx4 v[4:7], v173, s[14:15] offset:720
	global_load_dwordx4 v[8:11], v173, s[14:15] offset:1440
	v_add_co_u32 v20, vcc_lo, 0x800, v28
	v_add_co_ci_u32_e32 v21, vcc_lo, 0, v29, vcc_lo
	v_add_co_u32 v32, vcc_lo, 0x1000, v28
	v_add_co_ci_u32_e32 v33, vcc_lo, 0, v29, vcc_lo
	v_add_co_u32 v40, vcc_lo, 0x1800, v28
	s_clause 0x3
	global_load_dwordx4 v[12:15], v[20:21], off offset:112
	global_load_dwordx4 v[16:19], v[20:21], off offset:832
	;; [unrolled: 1-line block ×4, first 2 shown]
	v_add_co_ci_u32_e32 v41, vcc_lo, 0, v29, vcc_lo
	s_clause 0x3
	global_load_dwordx4 v[28:31], v[32:33], off offset:944
	global_load_dwordx4 v[32:35], v[32:33], off offset:1664
	global_load_dwordx4 v[36:39], v[40:41], off offset:336
	global_load_dwordx4 v[40:43], v[40:41], off offset:1056
	v_mad_u64_u32 v[44:45], null, s6, v112, 0
	v_mad_u64_u32 v[46:47], null, s4, v174, 0
	s_mul_i32 s2, s5, 0x2d0
	s_mul_hi_u32 s3, s4, 0x2d0
	s_mulk_i32 s4, 0x2d0
	s_add_i32 s3, s3, s2
	s_mov_b32 s0, 0xb37565e2
	s_mov_b32 s1, 0x3f608cab
	v_mad_u64_u32 v[48:49], null, s7, v112, v[45:46]
	v_mad_u64_u32 v[49:50], null, s5, v174, v[47:48]
	v_mov_b32_e32 v45, v48
	v_lshlrev_b64 v[44:45], 4, v[44:45]
	v_mov_b32_e32 v47, v49
	v_lshlrev_b64 v[46:47], 4, v[46:47]
	v_add_co_u32 v44, vcc_lo, s12, v44
	v_add_co_ci_u32_e32 v45, vcc_lo, s13, v45, vcc_lo
	v_add_co_u32 v88, vcc_lo, v44, v46
	v_add_co_ci_u32_e32 v89, vcc_lo, v45, v47, vcc_lo
	ds_read_b128 v[44:47], v173
	ds_read_b128 v[48:51], v173 offset:720
	ds_read_b128 v[52:55], v173 offset:1440
	;; [unrolled: 1-line block ×10, first 2 shown]
	v_add_co_u32 v90, vcc_lo, v88, s4
	v_add_co_ci_u32_e32 v91, vcc_lo, s3, v89, vcc_lo
	v_add_co_u32 v92, vcc_lo, v90, s4
	v_add_co_ci_u32_e32 v93, vcc_lo, s3, v91, vcc_lo
	;; [unrolled: 2-line block ×7, first 2 shown]
	s_waitcnt vmcnt(10) lgkmcnt(10)
	v_mul_f64 v[104:105], v[46:47], v[2:3]
	v_mul_f64 v[2:3], v[44:45], v[2:3]
	s_waitcnt vmcnt(9) lgkmcnt(9)
	v_mul_f64 v[106:107], v[50:51], v[6:7]
	v_mul_f64 v[6:7], v[48:49], v[6:7]
	;; [unrolled: 3-line block ×11, first 2 shown]
	v_fma_f64 v[44:45], v[44:45], v[0:1], v[104:105]
	v_fma_f64 v[2:3], v[0:1], v[46:47], -v[2:3]
	v_fma_f64 v[46:47], v[48:49], v[4:5], v[106:107]
	v_fma_f64 v[6:7], v[4:5], v[50:51], -v[6:7]
	;; [unrolled: 2-line block ×11, first 2 shown]
	v_mul_f64 v[0:1], v[44:45], s[0:1]
	v_mul_f64 v[2:3], v[2:3], s[0:1]
	;; [unrolled: 1-line block ×22, first 2 shown]
	v_add_co_u32 v44, vcc_lo, v102, s4
	v_add_co_ci_u32_e32 v45, vcc_lo, s3, v103, vcc_lo
	v_add_co_u32 v46, vcc_lo, v44, s4
	v_add_co_ci_u32_e32 v47, vcc_lo, s3, v45, vcc_lo
	;; [unrolled: 2-line block ×3, first 2 shown]
	global_store_dwordx4 v[88:89], v[0:3], off
	global_store_dwordx4 v[90:91], v[4:7], off
	;; [unrolled: 1-line block ×11, first 2 shown]
.LBB0_23:
	s_endpgm
	.section	.rodata,"a",@progbits
	.p2align	6, 0x0
	.amdhsa_kernel bluestein_single_back_len495_dim1_dp_op_CI_CI
		.amdhsa_group_segment_fixed_size 7920
		.amdhsa_private_segment_fixed_size 0
		.amdhsa_kernarg_size 104
		.amdhsa_user_sgpr_count 6
		.amdhsa_user_sgpr_private_segment_buffer 1
		.amdhsa_user_sgpr_dispatch_ptr 0
		.amdhsa_user_sgpr_queue_ptr 0
		.amdhsa_user_sgpr_kernarg_segment_ptr 1
		.amdhsa_user_sgpr_dispatch_id 0
		.amdhsa_user_sgpr_flat_scratch_init 0
		.amdhsa_user_sgpr_private_segment_size 0
		.amdhsa_wavefront_size32 1
		.amdhsa_uses_dynamic_stack 0
		.amdhsa_system_sgpr_private_segment_wavefront_offset 0
		.amdhsa_system_sgpr_workgroup_id_x 1
		.amdhsa_system_sgpr_workgroup_id_y 0
		.amdhsa_system_sgpr_workgroup_id_z 0
		.amdhsa_system_sgpr_workgroup_info 0
		.amdhsa_system_vgpr_workitem_id 0
		.amdhsa_next_free_vgpr 225
		.amdhsa_next_free_sgpr 40
		.amdhsa_reserve_vcc 1
		.amdhsa_reserve_flat_scratch 0
		.amdhsa_float_round_mode_32 0
		.amdhsa_float_round_mode_16_64 0
		.amdhsa_float_denorm_mode_32 3
		.amdhsa_float_denorm_mode_16_64 3
		.amdhsa_dx10_clamp 1
		.amdhsa_ieee_mode 1
		.amdhsa_fp16_overflow 0
		.amdhsa_workgroup_processor_mode 1
		.amdhsa_memory_ordered 1
		.amdhsa_forward_progress 0
		.amdhsa_shared_vgpr_count 0
		.amdhsa_exception_fp_ieee_invalid_op 0
		.amdhsa_exception_fp_denorm_src 0
		.amdhsa_exception_fp_ieee_div_zero 0
		.amdhsa_exception_fp_ieee_overflow 0
		.amdhsa_exception_fp_ieee_underflow 0
		.amdhsa_exception_fp_ieee_inexact 0
		.amdhsa_exception_int_div_zero 0
	.end_amdhsa_kernel
	.text
.Lfunc_end0:
	.size	bluestein_single_back_len495_dim1_dp_op_CI_CI, .Lfunc_end0-bluestein_single_back_len495_dim1_dp_op_CI_CI
                                        ; -- End function
	.section	.AMDGPU.csdata,"",@progbits
; Kernel info:
; codeLenInByte = 15060
; NumSgprs: 42
; NumVgprs: 225
; ScratchSize: 0
; MemoryBound: 0
; FloatMode: 240
; IeeeMode: 1
; LDSByteSize: 7920 bytes/workgroup (compile time only)
; SGPRBlocks: 5
; VGPRBlocks: 28
; NumSGPRsForWavesPerEU: 42
; NumVGPRsForWavesPerEU: 225
; Occupancy: 4
; WaveLimiterHint : 1
; COMPUTE_PGM_RSRC2:SCRATCH_EN: 0
; COMPUTE_PGM_RSRC2:USER_SGPR: 6
; COMPUTE_PGM_RSRC2:TRAP_HANDLER: 0
; COMPUTE_PGM_RSRC2:TGID_X_EN: 1
; COMPUTE_PGM_RSRC2:TGID_Y_EN: 0
; COMPUTE_PGM_RSRC2:TGID_Z_EN: 0
; COMPUTE_PGM_RSRC2:TIDIG_COMP_CNT: 0
	.text
	.p2alignl 6, 3214868480
	.fill 48, 4, 3214868480
	.type	__hip_cuid_4446c243bb7786e6,@object ; @__hip_cuid_4446c243bb7786e6
	.section	.bss,"aw",@nobits
	.globl	__hip_cuid_4446c243bb7786e6
__hip_cuid_4446c243bb7786e6:
	.byte	0                               ; 0x0
	.size	__hip_cuid_4446c243bb7786e6, 1

	.ident	"AMD clang version 19.0.0git (https://github.com/RadeonOpenCompute/llvm-project roc-6.4.0 25133 c7fe45cf4b819c5991fe208aaa96edf142730f1d)"
	.section	".note.GNU-stack","",@progbits
	.addrsig
	.addrsig_sym __hip_cuid_4446c243bb7786e6
	.amdgpu_metadata
---
amdhsa.kernels:
  - .args:
      - .actual_access:  read_only
        .address_space:  global
        .offset:         0
        .size:           8
        .value_kind:     global_buffer
      - .actual_access:  read_only
        .address_space:  global
        .offset:         8
        .size:           8
        .value_kind:     global_buffer
      - .actual_access:  read_only
        .address_space:  global
        .offset:         16
        .size:           8
        .value_kind:     global_buffer
      - .actual_access:  read_only
        .address_space:  global
        .offset:         24
        .size:           8
        .value_kind:     global_buffer
      - .actual_access:  read_only
        .address_space:  global
        .offset:         32
        .size:           8
        .value_kind:     global_buffer
      - .offset:         40
        .size:           8
        .value_kind:     by_value
      - .address_space:  global
        .offset:         48
        .size:           8
        .value_kind:     global_buffer
      - .address_space:  global
        .offset:         56
        .size:           8
        .value_kind:     global_buffer
      - .address_space:  global
        .offset:         64
        .size:           8
        .value_kind:     global_buffer
      - .address_space:  global
        .offset:         72
        .size:           8
        .value_kind:     global_buffer
      - .offset:         80
        .size:           4
        .value_kind:     by_value
      - .address_space:  global
        .offset:         88
        .size:           8
        .value_kind:     global_buffer
      - .address_space:  global
        .offset:         96
        .size:           8
        .value_kind:     global_buffer
    .group_segment_fixed_size: 7920
    .kernarg_segment_align: 8
    .kernarg_segment_size: 104
    .language:       OpenCL C
    .language_version:
      - 2
      - 0
    .max_flat_workgroup_size: 55
    .name:           bluestein_single_back_len495_dim1_dp_op_CI_CI
    .private_segment_fixed_size: 0
    .sgpr_count:     42
    .sgpr_spill_count: 0
    .symbol:         bluestein_single_back_len495_dim1_dp_op_CI_CI.kd
    .uniform_work_group_size: 1
    .uses_dynamic_stack: false
    .vgpr_count:     225
    .vgpr_spill_count: 0
    .wavefront_size: 32
    .workgroup_processor_mode: 1
amdhsa.target:   amdgcn-amd-amdhsa--gfx1030
amdhsa.version:
  - 1
  - 2
...

	.end_amdgpu_metadata
